;; amdgpu-corpus repo=ROCm/rocFFT kind=compiled arch=gfx906 opt=O3
	.text
	.amdgcn_target "amdgcn-amd-amdhsa--gfx906"
	.amdhsa_code_object_version 6
	.protected	fft_rtc_back_len1836_factors_17_3_3_2_6_wgs_153_tpt_153_halfLds_dp_op_CI_CI_sbrr_dirReg ; -- Begin function fft_rtc_back_len1836_factors_17_3_3_2_6_wgs_153_tpt_153_halfLds_dp_op_CI_CI_sbrr_dirReg
	.globl	fft_rtc_back_len1836_factors_17_3_3_2_6_wgs_153_tpt_153_halfLds_dp_op_CI_CI_sbrr_dirReg
	.p2align	8
	.type	fft_rtc_back_len1836_factors_17_3_3_2_6_wgs_153_tpt_153_halfLds_dp_op_CI_CI_sbrr_dirReg,@function
fft_rtc_back_len1836_factors_17_3_3_2_6_wgs_153_tpt_153_halfLds_dp_op_CI_CI_sbrr_dirReg: ; @fft_rtc_back_len1836_factors_17_3_3_2_6_wgs_153_tpt_153_halfLds_dp_op_CI_CI_sbrr_dirReg
; %bb.0:
	s_load_dwordx4 s[16:19], s[4:5], 0x18
	s_load_dwordx4 s[12:15], s[4:5], 0x0
	;; [unrolled: 1-line block ×3, first 2 shown]
	v_mul_u32_u24_e32 v1, 0x1ad, v0
	v_add_u32_sdwa v6, s6, v1 dst_sel:DWORD dst_unused:UNUSED_PAD src0_sel:DWORD src1_sel:WORD_1
	s_waitcnt lgkmcnt(0)
	s_load_dwordx2 s[22:23], s[16:17], 0x0
	s_load_dwordx2 s[20:21], s[18:19], 0x0
	v_cmp_lt_u64_e64 s[0:1], s[14:15], 2
	v_mov_b32_e32 v1, 0
	v_mov_b32_e32 v4, 0
	;; [unrolled: 1-line block ×3, first 2 shown]
	s_and_b64 vcc, exec, s[0:1]
	v_mov_b32_e32 v5, 0
	s_cbranch_vccnz .LBB0_8
; %bb.1:
	s_load_dwordx2 s[0:1], s[4:5], 0x10
	s_add_u32 s2, s18, 8
	s_addc_u32 s3, s19, 0
	s_add_u32 s6, s16, 8
	v_mov_b32_e32 v4, 0
	s_addc_u32 s7, s17, 0
	v_mov_b32_e32 v5, 0
	s_waitcnt lgkmcnt(0)
	s_add_u32 s24, s0, 8
	v_mov_b32_e32 v93, v5
	s_addc_u32 s25, s1, 0
	s_mov_b64 s[26:27], 1
	v_mov_b32_e32 v92, v4
.LBB0_2:                                ; =>This Inner Loop Header: Depth=1
	s_load_dwordx2 s[28:29], s[24:25], 0x0
                                        ; implicit-def: $vgpr96_vgpr97
	s_waitcnt lgkmcnt(0)
	v_or_b32_e32 v2, s29, v7
	v_cmp_ne_u64_e32 vcc, 0, v[1:2]
	s_and_saveexec_b64 s[0:1], vcc
	s_xor_b64 s[30:31], exec, s[0:1]
	s_cbranch_execz .LBB0_4
; %bb.3:                                ;   in Loop: Header=BB0_2 Depth=1
	v_cvt_f32_u32_e32 v2, s28
	v_cvt_f32_u32_e32 v3, s29
	s_sub_u32 s0, 0, s28
	s_subb_u32 s1, 0, s29
	v_mac_f32_e32 v2, 0x4f800000, v3
	v_rcp_f32_e32 v2, v2
	v_mul_f32_e32 v2, 0x5f7ffffc, v2
	v_mul_f32_e32 v3, 0x2f800000, v2
	v_trunc_f32_e32 v3, v3
	v_mac_f32_e32 v2, 0xcf800000, v3
	v_cvt_u32_f32_e32 v3, v3
	v_cvt_u32_f32_e32 v2, v2
	v_mul_lo_u32 v8, s0, v3
	v_mul_hi_u32 v9, s0, v2
	v_mul_lo_u32 v11, s1, v2
	v_mul_lo_u32 v10, s0, v2
	v_add_u32_e32 v8, v9, v8
	v_add_u32_e32 v8, v8, v11
	v_mul_hi_u32 v9, v2, v10
	v_mul_lo_u32 v11, v2, v8
	v_mul_hi_u32 v13, v2, v8
	v_mul_hi_u32 v12, v3, v10
	v_mul_lo_u32 v10, v3, v10
	v_mul_hi_u32 v14, v3, v8
	v_add_co_u32_e32 v9, vcc, v9, v11
	v_addc_co_u32_e32 v11, vcc, 0, v13, vcc
	v_mul_lo_u32 v8, v3, v8
	v_add_co_u32_e32 v9, vcc, v9, v10
	v_addc_co_u32_e32 v9, vcc, v11, v12, vcc
	v_addc_co_u32_e32 v10, vcc, 0, v14, vcc
	v_add_co_u32_e32 v8, vcc, v9, v8
	v_addc_co_u32_e32 v9, vcc, 0, v10, vcc
	v_add_co_u32_e32 v2, vcc, v2, v8
	v_addc_co_u32_e32 v3, vcc, v3, v9, vcc
	v_mul_lo_u32 v8, s0, v3
	v_mul_hi_u32 v9, s0, v2
	v_mul_lo_u32 v10, s1, v2
	v_mul_lo_u32 v11, s0, v2
	v_add_u32_e32 v8, v9, v8
	v_add_u32_e32 v8, v8, v10
	v_mul_lo_u32 v12, v2, v8
	v_mul_hi_u32 v13, v2, v11
	v_mul_hi_u32 v14, v2, v8
	;; [unrolled: 1-line block ×3, first 2 shown]
	v_mul_lo_u32 v11, v3, v11
	v_mul_hi_u32 v9, v3, v8
	v_add_co_u32_e32 v12, vcc, v13, v12
	v_addc_co_u32_e32 v13, vcc, 0, v14, vcc
	v_mul_lo_u32 v8, v3, v8
	v_add_co_u32_e32 v11, vcc, v12, v11
	v_addc_co_u32_e32 v10, vcc, v13, v10, vcc
	v_addc_co_u32_e32 v9, vcc, 0, v9, vcc
	v_add_co_u32_e32 v8, vcc, v10, v8
	v_addc_co_u32_e32 v9, vcc, 0, v9, vcc
	v_add_co_u32_e32 v8, vcc, v2, v8
	v_addc_co_u32_e32 v9, vcc, v3, v9, vcc
	v_mad_u64_u32 v[2:3], s[0:1], v6, v9, 0
	v_mul_hi_u32 v10, v6, v8
	v_add_co_u32_e32 v10, vcc, v10, v2
	v_addc_co_u32_e32 v11, vcc, 0, v3, vcc
	v_mad_u64_u32 v[2:3], s[0:1], v7, v8, 0
	v_mad_u64_u32 v[8:9], s[0:1], v7, v9, 0
	v_add_co_u32_e32 v2, vcc, v10, v2
	v_addc_co_u32_e32 v2, vcc, v11, v3, vcc
	v_addc_co_u32_e32 v3, vcc, 0, v9, vcc
	v_add_co_u32_e32 v8, vcc, v2, v8
	v_addc_co_u32_e32 v9, vcc, 0, v3, vcc
	v_mul_lo_u32 v10, s29, v8
	v_mul_lo_u32 v11, s28, v9
	v_mad_u64_u32 v[2:3], s[0:1], s28, v8, 0
	v_add3_u32 v3, v3, v11, v10
	v_sub_u32_e32 v10, v7, v3
	v_mov_b32_e32 v11, s29
	v_sub_co_u32_e32 v2, vcc, v6, v2
	v_subb_co_u32_e64 v10, s[0:1], v10, v11, vcc
	v_subrev_co_u32_e64 v11, s[0:1], s28, v2
	v_subbrev_co_u32_e64 v10, s[0:1], 0, v10, s[0:1]
	v_cmp_le_u32_e64 s[0:1], s29, v10
	v_cndmask_b32_e64 v12, 0, -1, s[0:1]
	v_cmp_le_u32_e64 s[0:1], s28, v11
	v_cndmask_b32_e64 v11, 0, -1, s[0:1]
	v_cmp_eq_u32_e64 s[0:1], s29, v10
	v_cndmask_b32_e64 v10, v12, v11, s[0:1]
	v_add_co_u32_e64 v11, s[0:1], 2, v8
	v_addc_co_u32_e64 v12, s[0:1], 0, v9, s[0:1]
	v_add_co_u32_e64 v13, s[0:1], 1, v8
	v_addc_co_u32_e64 v14, s[0:1], 0, v9, s[0:1]
	v_subb_co_u32_e32 v3, vcc, v7, v3, vcc
	v_cmp_ne_u32_e64 s[0:1], 0, v10
	v_cmp_le_u32_e32 vcc, s29, v3
	v_cndmask_b32_e64 v10, v14, v12, s[0:1]
	v_cndmask_b32_e64 v12, 0, -1, vcc
	v_cmp_le_u32_e32 vcc, s28, v2
	v_cndmask_b32_e64 v2, 0, -1, vcc
	v_cmp_eq_u32_e32 vcc, s29, v3
	v_cndmask_b32_e32 v2, v12, v2, vcc
	v_cmp_ne_u32_e32 vcc, 0, v2
	v_cndmask_b32_e64 v2, v13, v11, s[0:1]
	v_cndmask_b32_e32 v97, v9, v10, vcc
	v_cndmask_b32_e32 v96, v8, v2, vcc
.LBB0_4:                                ;   in Loop: Header=BB0_2 Depth=1
	s_andn2_saveexec_b64 s[0:1], s[30:31]
	s_cbranch_execz .LBB0_6
; %bb.5:                                ;   in Loop: Header=BB0_2 Depth=1
	v_cvt_f32_u32_e32 v2, s28
	s_sub_i32 s30, 0, s28
	v_mov_b32_e32 v97, v1
	v_rcp_iflag_f32_e32 v2, v2
	v_mul_f32_e32 v2, 0x4f7ffffe, v2
	v_cvt_u32_f32_e32 v2, v2
	v_mul_lo_u32 v3, s30, v2
	v_mul_hi_u32 v3, v2, v3
	v_add_u32_e32 v2, v2, v3
	v_mul_hi_u32 v2, v6, v2
	v_mul_lo_u32 v3, v2, s28
	v_add_u32_e32 v8, 1, v2
	v_sub_u32_e32 v3, v6, v3
	v_subrev_u32_e32 v9, s28, v3
	v_cmp_le_u32_e32 vcc, s28, v3
	v_cndmask_b32_e32 v3, v3, v9, vcc
	v_cndmask_b32_e32 v2, v2, v8, vcc
	v_add_u32_e32 v8, 1, v2
	v_cmp_le_u32_e32 vcc, s28, v3
	v_cndmask_b32_e32 v96, v2, v8, vcc
.LBB0_6:                                ;   in Loop: Header=BB0_2 Depth=1
	s_or_b64 exec, exec, s[0:1]
	v_mul_lo_u32 v8, v97, s28
	v_mul_lo_u32 v9, v96, s29
	v_mad_u64_u32 v[2:3], s[0:1], v96, s28, 0
	s_load_dwordx2 s[0:1], s[6:7], 0x0
	s_load_dwordx2 s[28:29], s[2:3], 0x0
	v_add3_u32 v3, v3, v9, v8
	v_sub_co_u32_e32 v2, vcc, v6, v2
	v_subb_co_u32_e32 v3, vcc, v7, v3, vcc
	s_waitcnt lgkmcnt(0)
	v_mul_lo_u32 v6, s0, v3
	v_mul_lo_u32 v7, s1, v2
	v_mad_u64_u32 v[4:5], s[0:1], s0, v2, v[4:5]
	v_mul_lo_u32 v3, s28, v3
	v_mul_lo_u32 v8, s29, v2
	v_mad_u64_u32 v[92:93], s[0:1], s28, v2, v[92:93]
	s_add_u32 s26, s26, 1
	s_addc_u32 s27, s27, 0
	s_add_u32 s2, s2, 8
	v_add3_u32 v93, v8, v93, v3
	s_addc_u32 s3, s3, 0
	v_mov_b32_e32 v2, s14
	s_add_u32 s6, s6, 8
	v_mov_b32_e32 v3, s15
	s_addc_u32 s7, s7, 0
	v_cmp_ge_u64_e32 vcc, s[26:27], v[2:3]
	s_add_u32 s24, s24, 8
	v_add3_u32 v5, v7, v5, v6
	s_addc_u32 s25, s25, 0
	s_cbranch_vccnz .LBB0_9
; %bb.7:                                ;   in Loop: Header=BB0_2 Depth=1
	v_mov_b32_e32 v6, v96
	v_mov_b32_e32 v7, v97
	s_branch .LBB0_2
.LBB0_8:
	v_mov_b32_e32 v93, v5
	v_mov_b32_e32 v97, v7
	;; [unrolled: 1-line block ×4, first 2 shown]
.LBB0_9:
	s_load_dwordx2 s[0:1], s[4:5], 0x28
	s_mov_b32 s4, 0x1ac5702
	v_mul_hi_u32 v1, v0, s4
	s_lshl_b64 s[2:3], s[14:15], 3
	s_add_u32 s4, s18, s2
	s_waitcnt lgkmcnt(0)
	v_cmp_gt_u64_e32 vcc, s[0:1], v[96:97]
	v_mul_u32_u24_e32 v1, 0x99, v1
	v_sub_u32_e32 v94, v0, v1
	s_movk_i32 s0, 0x6c
	v_cmp_gt_u32_e64 s[0:1], s0, v94
	s_addc_u32 s5, s19, s3
	s_and_b64 s[14:15], vcc, s[0:1]
                                        ; implicit-def: $vgpr50_vgpr51
                                        ; implicit-def: $vgpr54_vgpr55
                                        ; implicit-def: $vgpr42_vgpr43
                                        ; implicit-def: $vgpr34_vgpr35
                                        ; implicit-def: $vgpr26_vgpr27
                                        ; implicit-def: $vgpr18_vgpr19
                                        ; implicit-def: $vgpr10_vgpr11
                                        ; implicit-def: $vgpr2_vgpr3
                                        ; implicit-def: $vgpr6_vgpr7
                                        ; implicit-def: $vgpr14_vgpr15
                                        ; implicit-def: $vgpr22_vgpr23
                                        ; implicit-def: $vgpr30_vgpr31
                                        ; implicit-def: $vgpr38_vgpr39
                                        ; implicit-def: $vgpr46_vgpr47
                                        ; implicit-def: $vgpr62_vgpr63
                                        ; implicit-def: $vgpr66_vgpr67
                                        ; implicit-def: $vgpr58_vgpr59
	s_and_saveexec_b64 s[6:7], s[14:15]
	s_cbranch_execz .LBB0_11
; %bb.10:
	s_add_u32 s2, s16, s2
	s_addc_u32 s3, s17, s3
	s_load_dwordx2 s[2:3], s[2:3], 0x0
	v_mad_u64_u32 v[0:1], s[14:15], s22, v94, 0
	s_waitcnt lgkmcnt(0)
	v_mul_lo_u32 v8, s3, v96
	v_mul_lo_u32 v9, s2, v97
	v_mad_u64_u32 v[2:3], s[2:3], s2, v96, 0
	v_mad_u64_u32 v[6:7], s[2:3], s23, v94, v[1:2]
	v_add3_u32 v3, v3, v9, v8
	v_lshlrev_b64 v[2:3], 4, v[2:3]
	v_mov_b32_e32 v1, v6
	v_mov_b32_e32 v6, s9
	v_add_co_u32_e64 v7, s[2:3], s8, v2
	v_add_u32_e32 v8, 0x6c, v94
	v_addc_co_u32_e64 v6, s[2:3], v6, v3, s[2:3]
	v_lshlrev_b64 v[2:3], 4, v[4:5]
	v_mad_u64_u32 v[4:5], s[2:3], s22, v8, 0
	v_add_co_u32_e64 v9, s[2:3], v7, v2
	v_mov_b32_e32 v2, v5
	v_addc_co_u32_e64 v10, s[2:3], v6, v3, s[2:3]
	v_mad_u64_u32 v[2:3], s[2:3], s23, v8, v[2:3]
	v_add_u32_e32 v3, 0xd8, v94
	v_mad_u64_u32 v[6:7], s[2:3], s22, v3, 0
	v_lshlrev_b64 v[0:1], 4, v[0:1]
	v_mov_b32_e32 v5, v2
	v_add_co_u32_e64 v48, s[2:3], v9, v0
	v_mov_b32_e32 v2, v7
	v_addc_co_u32_e64 v49, s[2:3], v10, v1, s[2:3]
	v_lshlrev_b64 v[0:1], 4, v[4:5]
	v_mad_u64_u32 v[2:3], s[2:3], s23, v3, v[2:3]
	v_add_u32_e32 v5, 0x144, v94
	v_mad_u64_u32 v[3:4], s[2:3], s22, v5, 0
	v_add_co_u32_e64 v50, s[2:3], v9, v0
	v_mov_b32_e32 v7, v2
	v_mov_b32_e32 v2, v4
	v_addc_co_u32_e64 v51, s[2:3], v10, v1, s[2:3]
	v_lshlrev_b64 v[0:1], 4, v[6:7]
	v_mad_u64_u32 v[4:5], s[2:3], s23, v5, v[2:3]
	v_add_u32_e32 v7, 0x1b0, v94
	v_mad_u64_u32 v[5:6], s[2:3], s22, v7, 0
	v_add_co_u32_e64 v52, s[2:3], v9, v0
	v_mov_b32_e32 v2, v6
	v_addc_co_u32_e64 v53, s[2:3], v10, v1, s[2:3]
	v_lshlrev_b64 v[0:1], 4, v[3:4]
	v_mad_u64_u32 v[2:3], s[2:3], s23, v7, v[2:3]
	v_add_u32_e32 v7, 0x21c, v94
	v_mad_u64_u32 v[3:4], s[2:3], s22, v7, 0
	v_add_co_u32_e64 v54, s[2:3], v9, v0
	v_mov_b32_e32 v6, v2
	v_mov_b32_e32 v2, v4
	v_addc_co_u32_e64 v55, s[2:3], v10, v1, s[2:3]
	v_lshlrev_b64 v[0:1], 4, v[5:6]
	v_mad_u64_u32 v[4:5], s[2:3], s23, v7, v[2:3]
	v_add_u32_e32 v7, 0x288, v94
	v_mad_u64_u32 v[5:6], s[2:3], s22, v7, 0
	v_add_co_u32_e64 v68, s[2:3], v9, v0
	v_mov_b32_e32 v2, v6
	v_addc_co_u32_e64 v69, s[2:3], v10, v1, s[2:3]
	v_lshlrev_b64 v[0:1], 4, v[3:4]
	v_mad_u64_u32 v[2:3], s[2:3], s23, v7, v[2:3]
	v_add_u32_e32 v7, 0x2f4, v94
	v_mad_u64_u32 v[3:4], s[2:3], s22, v7, 0
	v_add_co_u32_e64 v70, s[2:3], v9, v0
	v_mov_b32_e32 v6, v2
	v_mov_b32_e32 v2, v4
	v_addc_co_u32_e64 v71, s[2:3], v10, v1, s[2:3]
	v_lshlrev_b64 v[0:1], 4, v[5:6]
	v_mad_u64_u32 v[4:5], s[2:3], s23, v7, v[2:3]
	v_add_u32_e32 v7, 0x360, v94
	v_mad_u64_u32 v[5:6], s[2:3], s22, v7, 0
	v_add_co_u32_e64 v72, s[2:3], v9, v0
	v_mov_b32_e32 v2, v6
	v_addc_co_u32_e64 v73, s[2:3], v10, v1, s[2:3]
	v_lshlrev_b64 v[0:1], 4, v[3:4]
	v_mad_u64_u32 v[2:3], s[2:3], s23, v7, v[2:3]
	v_add_u32_e32 v7, 0x3cc, v94
	v_mad_u64_u32 v[3:4], s[2:3], s22, v7, 0
	v_add_co_u32_e64 v74, s[2:3], v9, v0
	v_mov_b32_e32 v6, v2
	v_mov_b32_e32 v2, v4
	v_addc_co_u32_e64 v75, s[2:3], v10, v1, s[2:3]
	v_lshlrev_b64 v[0:1], 4, v[5:6]
	v_mad_u64_u32 v[4:5], s[2:3], s23, v7, v[2:3]
	v_add_u32_e32 v7, 0x438, v94
	v_mad_u64_u32 v[5:6], s[2:3], s22, v7, 0
	v_add_co_u32_e64 v76, s[2:3], v9, v0
	v_mov_b32_e32 v2, v6
	v_addc_co_u32_e64 v77, s[2:3], v10, v1, s[2:3]
	v_lshlrev_b64 v[0:1], 4, v[3:4]
	v_mad_u64_u32 v[2:3], s[2:3], s23, v7, v[2:3]
	v_add_u32_e32 v7, 0x4a4, v94
	v_mad_u64_u32 v[3:4], s[2:3], s22, v7, 0
	v_add_co_u32_e64 v78, s[2:3], v9, v0
	v_mov_b32_e32 v6, v2
	v_mov_b32_e32 v2, v4
	v_addc_co_u32_e64 v79, s[2:3], v10, v1, s[2:3]
	v_lshlrev_b64 v[0:1], 4, v[5:6]
	v_mad_u64_u32 v[4:5], s[2:3], s23, v7, v[2:3]
	v_add_u32_e32 v7, 0x510, v94
	v_mad_u64_u32 v[5:6], s[2:3], s22, v7, 0
	v_add_co_u32_e64 v80, s[2:3], v9, v0
	v_mov_b32_e32 v2, v6
	v_addc_co_u32_e64 v81, s[2:3], v10, v1, s[2:3]
	v_lshlrev_b64 v[0:1], 4, v[3:4]
	v_mad_u64_u32 v[2:3], s[2:3], s23, v7, v[2:3]
	v_add_u32_e32 v7, 0x57c, v94
	v_mad_u64_u32 v[3:4], s[2:3], s22, v7, 0
	v_add_co_u32_e64 v82, s[2:3], v9, v0
	v_mov_b32_e32 v6, v2
	v_mov_b32_e32 v2, v4
	v_addc_co_u32_e64 v83, s[2:3], v10, v1, s[2:3]
	v_lshlrev_b64 v[0:1], 4, v[5:6]
	v_mad_u64_u32 v[4:5], s[2:3], s23, v7, v[2:3]
	v_add_u32_e32 v7, 0x5e8, v94
	v_mad_u64_u32 v[5:6], s[2:3], s22, v7, 0
	v_add_co_u32_e64 v84, s[2:3], v9, v0
	v_mov_b32_e32 v2, v6
	v_addc_co_u32_e64 v85, s[2:3], v10, v1, s[2:3]
	v_lshlrev_b64 v[0:1], 4, v[3:4]
	v_mad_u64_u32 v[2:3], s[2:3], s23, v7, v[2:3]
	v_add_u32_e32 v7, 0x654, v94
	v_mad_u64_u32 v[3:4], s[2:3], s22, v7, 0
	v_add_co_u32_e64 v86, s[2:3], v9, v0
	v_mov_b32_e32 v6, v2
	v_mov_b32_e32 v2, v4
	v_addc_co_u32_e64 v87, s[2:3], v10, v1, s[2:3]
	v_lshlrev_b64 v[0:1], 4, v[5:6]
	v_mad_u64_u32 v[4:5], s[2:3], s23, v7, v[2:3]
	v_add_u32_e32 v7, 0x6c0, v94
	v_mad_u64_u32 v[5:6], s[2:3], s22, v7, 0
	v_add_co_u32_e64 v88, s[2:3], v9, v0
	v_mov_b32_e32 v2, v6
	v_addc_co_u32_e64 v89, s[2:3], v10, v1, s[2:3]
	v_lshlrev_b64 v[0:1], 4, v[3:4]
	v_mad_u64_u32 v[2:3], s[2:3], s23, v7, v[2:3]
	v_add_co_u32_e64 v90, s[2:3], v9, v0
	v_mov_b32_e32 v6, v2
	v_addc_co_u32_e64 v91, s[2:3], v10, v1, s[2:3]
	v_lshlrev_b64 v[0:1], 4, v[5:6]
	v_add_co_u32_e64 v98, s[2:3], v9, v0
	v_addc_co_u32_e64 v99, s[2:3], v10, v1, s[2:3]
	global_load_dwordx4 v[56:59], v[48:49], off
	global_load_dwordx4 v[64:67], v[50:51], off
	;; [unrolled: 1-line block ×15, first 2 shown]
                                        ; kill: killed $vgpr80 killed $vgpr81
                                        ; kill: killed $vgpr52 killed $vgpr53
                                        ; kill: killed $vgpr82 killed $vgpr83
                                        ; kill: killed $vgpr54 killed $vgpr55
                                        ; kill: killed $vgpr84 killed $vgpr85
                                        ; kill: killed $vgpr68 killed $vgpr69
                                        ; kill: killed $vgpr86 killed $vgpr87
                                        ; kill: killed $vgpr70 killed $vgpr71
                                        ; kill: killed $vgpr88 killed $vgpr89
                                        ; kill: killed $vgpr72 killed $vgpr73
                                        ; kill: killed $vgpr74 killed $vgpr75
                                        ; kill: killed $vgpr76 killed $vgpr77
                                        ; kill: killed $vgpr48 killed $vgpr49
                                        ; kill: killed $vgpr78 killed $vgpr79
                                        ; kill: killed $vgpr50 killed $vgpr51
	global_load_dwordx4 v[52:55], v[90:91], off
	global_load_dwordx4 v[48:51], v[98:99], off
.LBB0_11:
	s_or_b64 exec, exec, s[6:7]
	s_and_saveexec_b64 s[2:3], s[0:1]
	s_cbranch_execz .LBB0_13
; %bb.12:
	s_waitcnt vmcnt(15)
	v_add_f64 v[68:69], v[64:65], v[56:57]
	s_waitcnt vmcnt(0)
	v_add_f64 v[106:107], v[48:49], v[64:65]
	s_mov_b32 s56, 0x370991
	s_mov_b32 s57, 0x3fedd6d0
	v_add_f64 v[82:83], v[66:67], -v[50:51]
	v_add_f64 v[108:109], v[52:53], v[60:61]
	s_mov_b32 s6, 0x5d8e7cdc
	s_mov_b32 s54, 0x75d4884
	v_add_f64 v[68:69], v[60:61], v[68:69]
	v_mul_f64 v[90:91], v[106:107], s[56:57]
	s_mov_b32 s7, 0xbfd71e95
	s_mov_b32 s55, 0x3fe7a5f6
	v_add_f64 v[80:81], v[62:63], -v[54:55]
	v_add_f64 v[110:111], v[40:41], v[44:45]
	v_mul_f64 v[88:89], v[108:109], s[54:55]
	s_mov_b32 s8, 0x2a9d6da3
	v_add_f64 v[68:69], v[44:45], v[68:69]
	v_fma_f64 v[84:85], v[82:83], s[6:7], v[90:91]
	s_mov_b32 s40, 0x2b2883cd
	s_mov_b32 s9, 0xbfe58eea
	s_mov_b32 s41, 0x3fdc86fa
	v_add_f64 v[78:79], v[46:47], -v[42:43]
	v_add_f64 v[112:113], v[32:33], v[36:37]
	v_mul_f64 v[86:87], v[110:111], s[40:41]
	v_add_f64 v[68:69], v[36:37], v[68:69]
	v_fma_f64 v[98:99], v[80:81], s[8:9], v[88:89]
	v_add_f64 v[100:101], v[56:57], v[84:85]
	s_mov_b32 s14, 0x7c9e640b
	s_mov_b32 s38, 0x3259b75e
	;; [unrolled: 1-line block ×4, first 2 shown]
	v_add_f64 v[76:77], v[38:39], -v[34:35]
	v_add_f64 v[68:69], v[28:29], v[68:69]
	v_add_f64 v[114:115], v[24:25], v[28:29]
	v_mul_f64 v[84:85], v[112:113], s[38:39]
	v_mul_f64 v[122:123], v[106:107], s[40:41]
	v_fma_f64 v[104:105], v[78:79], s[14:15], v[86:87]
	v_add_f64 v[98:99], v[98:99], v[100:101]
	s_mov_b32 s28, 0xeb564b22
	s_mov_b32 s44, 0xc61f0d01
	v_add_f64 v[68:69], v[20:21], v[68:69]
	s_mov_b32 s52, 0x6ed5f1bb
	s_mov_b32 s29, 0xbfefdd0d
	;; [unrolled: 1-line block ×4, first 2 shown]
	v_add_f64 v[74:75], v[30:31], -v[26:27]
	v_add_f64 v[116:117], v[16:17], v[20:21]
	v_mul_f64 v[100:101], v[114:115], s[44:45]
	v_add_f64 v[72:73], v[12:13], v[68:69]
	v_mul_f64 v[124:125], v[108:109], s[52:53]
	v_fma_f64 v[126:127], v[76:77], s[28:29], v[84:85]
	v_fma_f64 v[128:129], v[82:83], s[14:15], v[122:123]
	v_add_f64 v[98:99], v[104:105], v[98:99]
	s_mov_b32 s16, 0x923c349f
	s_mov_b32 s18, 0x6c9a05f6
	;; [unrolled: 1-line block ×3, first 2 shown]
	v_add_f64 v[72:73], v[4:5], v[72:73]
	s_mov_b32 s17, 0x3feec746
	s_mov_b32 s27, 0xbfeec746
	;; [unrolled: 1-line block ×7, first 2 shown]
	v_add_f64 v[102:103], v[0:1], v[72:73]
	v_add_f64 v[70:71], v[22:23], -v[18:19]
	v_add_f64 v[118:119], v[8:9], v[12:13]
	v_mul_f64 v[130:131], v[110:111], s[58:59]
	v_fma_f64 v[132:133], v[74:75], s[26:27], v[100:101]
	v_fma_f64 v[134:135], v[80:81], s[30:31], v[124:125]
	v_add_f64 v[128:129], v[56:57], v[128:129]
	v_add_f64 v[126:127], v[126:127], v[98:99]
	v_add_f64 v[102:103], v[8:9], v[102:103]
	v_mul_f64 v[136:137], v[106:107], s[54:55]
	s_mov_b32 s60, 0x910ea3b9
	s_mov_b32 s24, 0xacd6c6b4
	;; [unrolled: 1-line block ×4, first 2 shown]
	v_add_f64 v[68:69], v[14:15], -v[10:11]
	v_add_f64 v[120:121], v[0:1], v[4:5]
	v_add_f64 v[104:105], v[16:17], v[102:103]
	v_mul_f64 v[102:103], v[116:117], s[52:53]
	v_mul_f64 v[98:99], v[118:119], s[60:61]
	;; [unrolled: 1-line block ×3, first 2 shown]
	v_fma_f64 v[142:143], v[78:79], s[24:25], v[130:131]
	v_add_f64 v[128:129], v[134:135], v[128:129]
	v_add_f64 v[126:127], v[132:133], v[126:127]
	v_mul_f64 v[134:135], v[108:109], s[38:39]
	v_add_f64 v[104:105], v[24:25], v[104:105]
	v_fma_f64 v[140:141], v[70:71], s[30:31], v[102:103]
	v_fma_f64 v[144:145], v[82:83], s[8:9], v[136:137]
	s_mov_b32 s22, 0x4363dd80
	s_mov_b32 s23, 0x3fe0d888
	;; [unrolled: 1-line block ×4, first 2 shown]
	v_add_f64 v[72:73], v[6:7], -v[2:3]
	v_add_f64 v[132:133], v[32:33], v[104:105]
	v_mul_f64 v[104:105], v[120:121], s[58:59]
	v_fma_f64 v[146:147], v[68:69], s[34:35], v[98:99]
	v_fma_f64 v[148:149], v[76:77], s[16:17], v[138:139]
	v_add_f64 v[128:129], v[142:143], v[128:129]
	v_add_f64 v[126:127], v[140:141], v[126:127]
	v_fma_f64 v[140:141], v[80:81], s[28:29], v[134:135]
	v_add_f64 v[142:143], v[56:57], v[144:145]
	v_mul_f64 v[144:145], v[110:111], s[52:53]
	v_mul_f64 v[150:151], v[114:115], s[54:55]
	s_mov_b32 s37, 0xbfc7851a
	s_mov_b32 s36, s24
	;; [unrolled: 1-line block ×4, first 2 shown]
	v_fma_f64 v[152:153], v[72:73], s[36:37], v[104:105]
	v_add_f64 v[128:129], v[148:149], v[128:129]
	v_add_f64 v[126:127], v[146:147], v[126:127]
	;; [unrolled: 1-line block ×3, first 2 shown]
	v_fma_f64 v[142:143], v[78:79], s[30:31], v[144:145]
	v_mul_f64 v[146:147], v[112:113], s[58:59]
	v_fma_f64 v[148:149], v[74:75], s[42:43], v[150:151]
	v_mul_f64 v[154:155], v[116:117], s[56:57]
	v_mul_f64 v[156:157], v[114:115], s[60:61]
	;; [unrolled: 1-line block ×3, first 2 shown]
	v_add_f64 v[126:127], v[152:153], v[126:127]
	v_mul_f64 v[152:153], v[106:107], s[44:45]
	v_add_f64 v[140:141], v[142:143], v[140:141]
	v_fma_f64 v[142:143], v[76:77], s[36:37], v[146:147]
	v_add_f64 v[128:129], v[148:149], v[128:129]
	v_fma_f64 v[148:149], v[70:71], s[6:7], v[154:155]
	v_add_f64 v[132:133], v[40:41], v[132:133]
	v_mul_f64 v[162:163], v[108:109], s[60:61]
	v_mul_f64 v[164:165], v[116:117], s[44:45]
	v_fma_f64 v[160:161], v[82:83], s[26:27], v[152:153]
	v_mul_f64 v[168:169], v[110:111], s[54:55]
	v_add_f64 v[140:141], v[142:143], v[140:141]
	v_fma_f64 v[142:143], v[74:75], s[22:23], v[156:157]
	v_add_f64 v[128:129], v[148:149], v[128:129]
	v_fma_f64 v[148:149], v[68:69], s[28:29], v[158:159]
	;; [unrolled: 2-line block ×3, first 2 shown]
	v_add_f64 v[160:161], v[56:57], v[160:161]
	s_mov_b32 s47, 0x3feca52d
	s_mov_b32 s46, s14
	v_add_f64 v[140:141], v[142:143], v[140:141]
	v_fma_f64 v[142:143], v[70:71], s[16:17], v[164:165]
	v_add_f64 v[128:129], v[148:149], v[128:129]
	v_mul_f64 v[148:149], v[118:119], s[40:41]
	v_add_f64 v[132:133], v[48:49], v[132:133]
	v_mul_f64 v[170:171], v[120:121], s[60:61]
	v_add_f64 v[160:161], v[166:167], v[160:161]
	v_fma_f64 v[166:167], v[78:79], s[42:43], v[168:169]
	v_mul_f64 v[172:173], v[112:113], s[40:41]
	v_add_f64 v[140:141], v[142:143], v[140:141]
	v_mul_f64 v[176:177], v[106:107], s[38:39]
	v_fma_f64 v[142:143], v[68:69], s[46:47], v[148:149]
	s_movk_i32 s33, 0x88
	v_mad_u32_u24 v95, v94, s33, 0
	v_fma_f64 v[174:175], v[72:73], s[34:35], v[170:171]
	v_add_f64 v[160:161], v[166:167], v[160:161]
	v_fma_f64 v[166:167], v[76:77], s[14:15], v[172:173]
	v_mul_f64 v[178:179], v[114:115], s[58:59]
	ds_write2_b64 v95, v[132:133], v[126:127] offset1:1
	v_add_f64 v[132:133], v[142:143], v[140:141]
	v_fma_f64 v[140:141], v[82:83], s[28:29], v[176:177]
	v_mul_f64 v[142:143], v[108:109], s[58:59]
	v_add_f64 v[126:127], v[174:175], v[128:129]
	v_mul_f64 v[128:129], v[120:121], s[56:57]
	v_add_f64 v[160:161], v[166:167], v[160:161]
	v_fma_f64 v[166:167], v[74:75], s[36:37], v[178:179]
	v_mul_f64 v[180:181], v[116:117], s[38:39]
	v_mul_f64 v[184:185], v[110:111], s[44:45]
	v_add_f64 v[140:141], v[56:57], v[140:141]
	v_fma_f64 v[182:183], v[80:81], s[36:37], v[142:143]
	s_mov_b32 s51, 0x3fd71e95
	s_mov_b32 s50, s6
	;; [unrolled: 1-line block ×4, first 2 shown]
	v_fma_f64 v[174:175], v[72:73], s[50:51], v[128:129]
	v_add_f64 v[160:161], v[166:167], v[160:161]
	v_mul_f64 v[166:167], v[106:107], s[60:61]
	v_fma_f64 v[186:187], v[70:71], s[48:49], v[180:181]
	v_mul_f64 v[188:189], v[118:119], s[56:57]
	v_add_f64 v[140:141], v[182:183], v[140:141]
	v_fma_f64 v[182:183], v[78:79], s[16:17], v[184:185]
	v_mul_f64 v[190:191], v[112:113], s[56:57]
	v_add_f64 v[132:133], v[174:175], v[132:133]
	v_mul_f64 v[192:193], v[108:109], s[40:41]
	v_fma_f64 v[174:175], v[82:83], s[34:35], v[166:167]
	v_add_f64 v[160:161], v[186:187], v[160:161]
	v_fma_f64 v[186:187], v[68:69], s[6:7], v[188:189]
	v_mul_f64 v[194:195], v[120:121], s[52:53]
	v_add_f64 v[140:141], v[182:183], v[140:141]
	v_fma_f64 v[182:183], v[76:77], s[50:51], v[190:191]
	v_mul_f64 v[196:197], v[114:115], s[40:41]
	v_fma_f64 v[198:199], v[80:81], s[46:47], v[192:193]
	v_add_f64 v[174:175], v[56:57], v[174:175]
	v_mul_f64 v[200:201], v[110:111], s[38:39]
	v_add_f64 v[160:161], v[186:187], v[160:161]
	v_fma_f64 v[186:187], v[72:73], s[30:31], v[194:195]
	v_mul_f64 v[202:203], v[106:107], s[52:53]
	v_add_f64 v[140:141], v[182:183], v[140:141]
	v_fma_f64 v[182:183], v[74:75], s[14:15], v[196:197]
	v_mul_f64 v[204:205], v[116:117], s[60:61]
	v_add_f64 v[174:175], v[198:199], v[174:175]
	v_fma_f64 v[198:199], v[78:79], s[28:29], v[200:201]
	v_mul_f64 v[206:207], v[112:113], s[52:53]
	v_add_f64 v[160:161], v[186:187], v[160:161]
	v_fma_f64 v[186:187], v[82:83], s[30:31], v[202:203]
	v_mul_f64 v[208:209], v[108:109], s[44:45]
	v_add_f64 v[140:141], v[182:183], v[140:141]
	v_fma_f64 v[182:183], v[70:71], s[34:35], v[204:205]
	v_mul_f64 v[210:211], v[118:119], s[52:53]
	v_add_f64 v[174:175], v[198:199], v[174:175]
	v_fma_f64 v[198:199], v[76:77], s[18:19], v[206:207]
	v_mul_f64 v[212:213], v[114:115], s[56:57]
	v_add_f64 v[186:187], v[56:57], v[186:187]
	v_fma_f64 v[214:215], v[80:81], s[16:17], v[208:209]
	v_mul_f64 v[216:217], v[110:111], s[56:57]
	v_add_f64 v[140:141], v[182:183], v[140:141]
	v_fma_f64 v[182:183], v[68:69], s[18:19], v[210:211]
	v_mul_f64 v[218:219], v[120:121], s[54:55]
	v_add_f64 v[174:175], v[198:199], v[174:175]
	v_fma_f64 v[198:199], v[74:75], s[6:7], v[212:213]
	v_mul_f64 v[220:221], v[112:113], s[60:61]
	v_add_f64 v[186:187], v[214:215], v[186:187]
	v_fma_f64 v[214:215], v[78:79], s[6:7], v[216:217]
	v_mul_f64 v[106:107], v[106:107], s[58:59]
	v_add_f64 v[140:141], v[182:183], v[140:141]
	v_mul_f64 v[182:183], v[116:117], s[58:59]
	v_fma_f64 v[224:225], v[72:73], s[42:43], v[218:219]
	v_add_f64 v[174:175], v[198:199], v[174:175]
	v_fma_f64 v[198:199], v[76:77], s[34:35], v[220:221]
	v_mul_f64 v[108:109], v[108:109], s[56:57]
	v_add_f64 v[186:187], v[214:215], v[186:187]
	v_mul_f64 v[214:215], v[114:115], s[38:39]
	v_fma_f64 v[222:223], v[82:83], s[24:25], v[106:107]
	v_fma_f64 v[226:227], v[70:71], s[36:37], v[182:183]
	v_add_f64 v[140:141], v[224:225], v[140:141]
	v_mul_f64 v[224:225], v[118:119], s[54:55]
	v_mul_f64 v[232:233], v[120:121], s[44:45]
	v_fma_f64 v[106:107], v[82:83], s[36:37], v[106:107]
	v_add_f64 v[186:187], v[198:199], v[186:187]
	v_fma_f64 v[198:199], v[74:75], s[48:49], v[214:215]
	v_mul_f64 v[234:235], v[118:119], s[58:59]
	v_add_f64 v[174:175], v[226:227], v[174:175]
	v_mul_f64 v[226:227], v[116:117], s[54:55]
	v_fma_f64 v[230:231], v[68:69], s[42:43], v[224:225]
	v_add_f64 v[222:223], v[56:57], v[222:223]
	v_fma_f64 v[228:229], v[80:81], s[6:7], v[108:109]
	v_mul_f64 v[110:111], v[110:111], s[60:61]
	v_add_f64 v[186:187], v[198:199], v[186:187]
	v_fma_f64 v[108:109], v[80:81], s[50:51], v[108:109]
	v_add_f64 v[106:107], v[56:57], v[106:107]
	v_fma_f64 v[198:199], v[70:71], s[8:9], v[226:227]
	;; [unrolled: 2-line block ×4, first 2 shown]
	v_mul_f64 v[112:113], v[112:113], s[54:55]
	v_mul_f64 v[114:115], v[114:115], s[52:53]
	v_add_f64 v[106:107], v[108:109], v[106:107]
	v_add_f64 v[186:187], v[198:199], v[186:187]
	v_fma_f64 v[198:199], v[68:69], s[36:37], v[234:235]
	v_fma_f64 v[108:109], v[78:79], s[34:35], v[110:111]
	v_add_f64 v[110:111], v[230:231], v[174:175]
	v_add_f64 v[222:223], v[228:229], v[222:223]
	v_fma_f64 v[228:229], v[76:77], s[8:9], v[112:113]
	v_mul_f64 v[116:117], v[116:117], s[40:41]
	v_mul_f64 v[118:119], v[118:119], s[44:45]
	v_fma_f64 v[122:123], v[82:83], s[46:47], v[122:123]
	v_add_f64 v[174:175], v[198:199], v[186:187]
	v_fma_f64 v[186:187], v[82:83], s[18:19], v[202:203]
	v_add_f64 v[106:107], v[108:109], v[106:107]
	v_fma_f64 v[108:109], v[76:77], s[42:43], v[112:113]
	v_fma_f64 v[112:113], v[80:81], s[26:27], v[208:209]
	v_add_f64 v[222:223], v[228:229], v[222:223]
	v_fma_f64 v[228:229], v[74:75], s[18:19], v[114:115]
	v_fma_f64 v[136:137], v[82:83], s[42:43], v[136:137]
	;; [unrolled: 1-line block ×3, first 2 shown]
	v_add_f64 v[186:187], v[56:57], v[186:187]
	v_fma_f64 v[152:153], v[82:83], s[16:17], v[152:153]
	v_add_f64 v[106:107], v[108:109], v[106:107]
	v_fma_f64 v[108:109], v[74:75], s[30:31], v[114:115]
	v_fma_f64 v[114:115], v[78:79], s[50:51], v[216:217]
	;; [unrolled: 1-line block ×4, first 2 shown]
	v_add_f64 v[122:123], v[56:57], v[122:123]
	v_add_f64 v[112:113], v[112:113], v[186:187]
	v_fma_f64 v[134:135], v[80:81], s[48:49], v[134:135]
	v_add_f64 v[136:137], v[56:57], v[136:137]
	v_add_f64 v[106:107], v[108:109], v[106:107]
	v_fma_f64 v[108:109], v[70:71], s[46:47], v[116:117]
	v_fma_f64 v[192:193], v[80:81], s[14:15], v[192:193]
	v_add_f64 v[166:167], v[56:57], v[166:167]
	v_fma_f64 v[162:163], v[80:81], s[34:35], v[162:163]
	v_add_f64 v[112:113], v[114:115], v[112:113]
	;; [unrolled: 2-line block ×5, first 2 shown]
	v_fma_f64 v[192:193], v[78:79], s[48:49], v[200:201]
	v_mul_f64 v[208:209], v[120:121], s[40:41]
	v_add_f64 v[112:113], v[114:115], v[112:113]
	v_fma_f64 v[114:115], v[74:75], s[28:29], v[214:215]
	v_add_f64 v[152:153], v[162:163], v[152:153]
	v_fma_f64 v[162:163], v[78:79], s[8:9], v[168:169]
	v_add_f64 v[106:107], v[108:109], v[106:107]
	v_add_f64 v[198:199], v[228:229], v[222:223]
	;; [unrolled: 1-line block ×3, first 2 shown]
	v_fma_f64 v[192:193], v[76:77], s[30:31], v[206:207]
	v_fma_f64 v[200:201], v[72:73], s[46:47], v[208:209]
	v_add_f64 v[108:109], v[114:115], v[112:113]
	v_fma_f64 v[114:115], v[82:83], s[48:49], v[176:177]
	v_fma_f64 v[82:83], v[82:83], s[50:51], v[90:91]
	v_add_f64 v[90:91], v[124:125], v[122:123]
	v_fma_f64 v[122:123], v[78:79], s[36:37], v[130:131]
	v_add_f64 v[124:125], v[134:135], v[136:137]
	v_fma_f64 v[130:131], v[78:79], s[18:19], v[144:145]
	v_fma_f64 v[112:113], v[70:71], s[42:43], v[226:227]
	v_add_f64 v[166:167], v[192:193], v[166:167]
	v_add_f64 v[114:115], v[56:57], v[114:115]
	;; [unrolled: 1-line block ×3, first 2 shown]
	v_fma_f64 v[82:83], v[76:77], s[6:7], v[190:191]
	v_add_f64 v[88:89], v[122:123], v[90:91]
	v_fma_f64 v[90:91], v[76:77], s[26:27], v[138:139]
	v_add_f64 v[122:123], v[130:131], v[124:125]
	;; [unrolled: 2-line block ×3, first 2 shown]
	v_add_f64 v[114:115], v[142:143], v[114:115]
	v_fma_f64 v[142:143], v[78:79], s[26:27], v[184:185]
	v_fma_f64 v[78:79], v[78:79], s[46:47], v[86:87]
	v_add_f64 v[56:57], v[80:81], v[56:57]
	v_add_f64 v[112:113], v[162:163], v[152:153]
	v_fma_f64 v[152:153], v[76:77], s[46:47], v[172:173]
	v_fma_f64 v[76:77], v[76:77], s[48:49], v[84:85]
	v_add_f64 v[86:87], v[90:91], v[88:89]
	v_fma_f64 v[88:89], v[74:75], s[8:9], v[150:151]
	v_add_f64 v[114:115], v[142:143], v[114:115]
	v_add_f64 v[90:91], v[124:125], v[122:123]
	;; [unrolled: 1-line block ×3, first 2 shown]
	v_fma_f64 v[192:193], v[74:75], s[50:51], v[212:213]
	v_add_f64 v[112:113], v[152:153], v[112:113]
	v_fma_f64 v[130:131], v[74:75], s[24:25], v[178:179]
	v_fma_f64 v[202:203], v[70:71], s[14:15], v[116:117]
	v_add_f64 v[86:87], v[88:89], v[86:87]
	v_add_f64 v[80:81], v[82:83], v[114:115]
	v_fma_f64 v[114:115], v[74:75], s[34:35], v[156:157]
	v_fma_f64 v[82:83], v[74:75], s[46:47], v[196:197]
	;; [unrolled: 1-line block ×3, first 2 shown]
	v_add_f64 v[56:57], v[76:77], v[56:57]
	v_fma_f64 v[76:77], v[70:71], s[50:51], v[154:155]
	v_fma_f64 v[186:187], v[68:69], s[16:17], v[118:119]
	v_add_f64 v[118:119], v[200:201], v[174:175]
	v_add_f64 v[166:167], v[192:193], v[166:167]
	;; [unrolled: 1-line block ×3, first 2 shown]
	v_fma_f64 v[90:91], v[70:71], s[26:27], v[164:165]
	v_fma_f64 v[174:175], v[70:71], s[24:25], v[182:183]
	v_add_f64 v[78:79], v[130:131], v[112:113]
	v_fma_f64 v[84:85], v[70:71], s[28:29], v[180:181]
	v_add_f64 v[80:81], v[82:83], v[80:81]
	v_fma_f64 v[82:83], v[70:71], s[22:23], v[204:205]
	v_fma_f64 v[70:71], v[70:71], s[18:19], v[102:103]
	v_add_f64 v[56:57], v[74:75], v[56:57]
	v_add_f64 v[198:199], v[202:203], v[198:199]
	v_mul_f64 v[120:121], v[120:121], s[38:39]
	v_add_f64 v[74:75], v[76:77], v[86:87]
	v_add_f64 v[76:77], v[90:91], v[88:89]
	v_fma_f64 v[86:87], v[68:69], s[48:49], v[158:159]
	v_fma_f64 v[88:89], v[68:69], s[14:15], v[148:149]
	v_add_f64 v[166:167], v[174:175], v[166:167]
	v_fma_f64 v[168:169], v[68:69], s[8:9], v[224:225]
	v_fma_f64 v[162:163], v[68:69], s[24:25], v[234:235]
	v_add_f64 v[78:79], v[84:85], v[78:79]
	v_fma_f64 v[84:85], v[68:69], s[50:51], v[188:189]
	v_add_f64 v[80:81], v[82:83], v[80:81]
	v_fma_f64 v[82:83], v[68:69], s[30:31], v[210:211]
	v_fma_f64 v[68:69], v[68:69], s[22:23], v[98:99]
	v_add_f64 v[56:57], v[70:71], v[56:57]
	v_add_f64 v[116:117], v[186:187], v[198:199]
	v_fma_f64 v[186:187], v[72:73], s[28:29], v[120:121]
	v_add_f64 v[70:71], v[86:87], v[74:75]
	v_add_f64 v[74:75], v[88:89], v[76:77]
	;; [unrolled: 3-line block ×3, first 2 shown]
	v_add_f64 v[78:79], v[84:85], v[78:79]
	v_add_f64 v[80:81], v[82:83], v[80:81]
	v_fma_f64 v[82:83], v[72:73], s[16:17], v[232:233]
	v_fma_f64 v[84:85], v[72:73], s[14:15], v[208:209]
	;; [unrolled: 1-line block ×7, first 2 shown]
	v_add_f64 v[56:57], v[68:69], v[56:57]
	v_add_f64 v[116:117], v[186:187], v[116:117]
	;; [unrolled: 1-line block ×10, first 2 shown]
	ds_write2_b64 v95, v[132:133], v[126:127] offset0:2 offset1:3
	ds_write2_b64 v95, v[140:141], v[160:161] offset0:4 offset1:5
	;; [unrolled: 1-line block ×7, first 2 shown]
	ds_write_b64 v95, v[56:57] offset:128
.LBB0_13:
	s_or_b64 exec, exec, s[2:3]
	s_waitcnt vmcnt(16)
	v_lshl_add_u32 v56, v94, 3, 0
	v_add_u32_e32 v98, 0x1000, v56
	v_add_u32_e32 v99, 0x2400, v56
	;; [unrolled: 1-line block ×5, first 2 shown]
	s_waitcnt vmcnt(0) lgkmcnt(0)
	s_barrier
	ds_read2_b64 v[72:75], v56 offset1:153
	ds_read2_b64 v[84:87], v98 offset0:100 offset1:253
	ds_read2_b64 v[88:91], v99 offset0:72 offset1:225
	;; [unrolled: 1-line block ×5, first 2 shown]
	s_waitcnt lgkmcnt(0)
	s_barrier
	s_and_saveexec_b64 s[2:3], s[0:1]
	s_cbranch_execz .LBB0_15
; %bb.14:
	v_add_f64 v[102:103], v[66:67], v[58:59]
	v_add_f64 v[48:49], v[64:65], -v[48:49]
	v_add_f64 v[52:53], v[60:61], -v[52:53]
	s_mov_b32 s26, 0x5d8e7cdc
	s_mov_b32 s42, 0x2a9d6da3
	s_mov_b32 s44, 0x7c9e640b
	s_mov_b32 s38, 0xeb564b22
	s_mov_b32 s22, 0x923c349f
	v_add_f64 v[64:65], v[62:63], v[102:103]
	s_mov_b32 s24, 0x6c9a05f6
	s_mov_b32 s30, 0x4363dd80
	;; [unrolled: 1-line block ×7, first 2 shown]
	v_add_f64 v[64:65], v[46:47], v[64:65]
	s_mov_b32 s23, 0xbfeec746
	s_mov_b32 s25, 0xbfe9895b
	;; [unrolled: 1-line block ×4, first 2 shown]
	v_add_f64 v[66:67], v[50:51], v[66:67]
	v_mul_f64 v[102:103], v[48:49], s[42:43]
	v_mul_f64 v[104:105], v[48:49], s[44:45]
	v_add_f64 v[64:65], v[38:39], v[64:65]
	v_mul_f64 v[106:107], v[48:49], s[38:39]
	v_mul_f64 v[108:109], v[48:49], s[22:23]
	;; [unrolled: 1-line block ×4, first 2 shown]
	s_mov_b32 s16, 0x370991
	s_mov_b32 s8, 0x75d4884
	;; [unrolled: 1-line block ×3, first 2 shown]
	v_add_f64 v[64:65], v[30:31], v[64:65]
	s_mov_b32 s6, 0x3259b75e
	s_mov_b32 s14, 0xc61f0d01
	;; [unrolled: 1-line block ×7, first 2 shown]
	v_add_f64 v[64:65], v[22:23], v[64:65]
	s_mov_b32 s1, 0x3fdc86fa
	s_mov_b32 s7, 0x3fb79ee6
	;; [unrolled: 1-line block ×6, first 2 shown]
	v_add_f64 v[62:63], v[54:55], v[62:63]
	v_add_f64 v[60:61], v[14:15], v[64:65]
	v_mul_f64 v[64:65], v[48:49], s[26:27]
	v_mul_f64 v[48:49], v[48:49], s[40:41]
	;; [unrolled: 1-line block ×6, first 2 shown]
	v_fma_f64 v[130:131], v[66:67], s[8:9], -v[102:103]
	v_add_f64 v[60:61], v[6:7], v[60:61]
	v_fma_f64 v[128:129], v[66:67], s[16:17], -v[64:65]
	v_fma_f64 v[64:65], v[66:67], s[16:17], v[64:65]
	v_fma_f64 v[102:103], v[66:67], s[8:9], v[102:103]
	v_fma_f64 v[132:133], v[66:67], s[0:1], -v[104:105]
	v_fma_f64 v[104:105], v[66:67], s[0:1], v[104:105]
	v_fma_f64 v[134:135], v[66:67], s[6:7], -v[106:107]
	v_fma_f64 v[106:107], v[66:67], s[6:7], v[106:107]
	v_add_f64 v[60:61], v[2:3], v[60:61]
	v_fma_f64 v[136:137], v[66:67], s[14:15], -v[108:109]
	v_fma_f64 v[108:109], v[66:67], s[14:15], v[108:109]
	v_fma_f64 v[138:139], v[66:67], s[18:19], -v[110:111]
	v_fma_f64 v[110:111], v[66:67], s[18:19], v[110:111]
	;; [unrolled: 2-line block ×3, first 2 shown]
	v_fma_f64 v[142:143], v[66:67], s[34:35], -v[48:49]
	v_add_f64 v[60:61], v[10:11], v[60:61]
	v_fma_f64 v[48:49], v[66:67], s[34:35], v[48:49]
	s_mov_b32 s53, 0x3fe0d888
	s_mov_b32 s51, 0x3feec746
	;; [unrolled: 1-line block ×6, first 2 shown]
	v_add_f64 v[60:61], v[18:19], v[60:61]
	v_mul_f64 v[122:123], v[52:53], s[52:53]
	v_mul_f64 v[124:125], v[52:53], s[50:51]
	;; [unrolled: 1-line block ×3, first 2 shown]
	v_fma_f64 v[66:67], v[62:63], s[8:9], -v[114:115]
	v_fma_f64 v[144:145], v[62:63], s[6:7], -v[116:117]
	v_fma_f64 v[116:117], v[62:63], s[6:7], v[116:117]
	v_fma_f64 v[146:147], v[62:63], s[18:19], -v[118:119]
	v_add_f64 v[60:61], v[26:27], v[60:61]
	v_fma_f64 v[118:119], v[62:63], s[18:19], v[118:119]
	v_fma_f64 v[148:149], v[62:63], s[34:35], -v[120:121]
	v_fma_f64 v[120:121], v[62:63], s[34:35], v[120:121]
	v_add_f64 v[128:129], v[58:59], v[128:129]
	v_add_f64 v[64:65], v[58:59], v[64:65]
	;; [unrolled: 1-line block ×18, first 2 shown]
	v_add_f64 v[40:41], v[44:45], -v[40:41]
	s_mov_b32 s47, 0x3fd71e95
	v_add_f64 v[48:49], v[54:55], v[60:61]
	s_mov_b32 s46, s26
	v_add_f64 v[54:55], v[66:67], v[128:129]
	v_add_f64 v[66:67], v[116:117], v[102:103]
	;; [unrolled: 1-line block ×3, first 2 shown]
	v_fma_f64 v[116:117], v[62:63], s[28:29], v[122:123]
	v_fma_f64 v[118:119], v[62:63], s[14:15], v[124:125]
	v_mul_f64 v[52:53], v[52:53], s[46:47]
	v_add_f64 v[48:49], v[50:51], v[48:49]
	v_add_f64 v[50:51], v[120:121], v[106:107]
	v_fma_f64 v[120:121], v[62:63], s[0:1], -v[126:127]
	v_add_f64 v[42:43], v[42:43], v[46:47]
	v_mul_f64 v[46:47], v[40:41], s[44:45]
	v_fma_f64 v[114:115], v[62:63], s[8:9], v[114:115]
	v_fma_f64 v[150:151], v[62:63], s[28:29], -v[122:123]
	v_fma_f64 v[44:45], v[62:63], s[14:15], -v[124:125]
	v_fma_f64 v[122:123], v[62:63], s[0:1], v[126:127]
	v_add_f64 v[108:109], v[116:117], v[108:109]
	v_add_f64 v[110:111], v[118:119], v[110:111]
	;; [unrolled: 1-line block ×3, first 2 shown]
	v_fma_f64 v[118:119], v[62:63], s[16:17], -v[52:53]
	v_fma_f64 v[52:53], v[62:63], s[16:17], v[52:53]
	v_fma_f64 v[62:63], v[42:43], s[0:1], -v[46:47]
	v_mul_f64 v[120:121], v[40:41], s[24:25]
	s_mov_b32 s49, 0x3fc7851a
	s_mov_b32 s48, s40
	v_add_f64 v[60:61], v[114:115], v[64:65]
	v_add_f64 v[64:65], v[144:145], v[130:131]
	;; [unrolled: 1-line block ×3, first 2 shown]
	v_mul_f64 v[122:123], v[40:41], s[48:49]
	v_add_f64 v[52:53], v[52:53], v[58:59]
	v_add_f64 v[54:55], v[62:63], v[54:55]
	v_fma_f64 v[46:47], v[42:43], s[0:1], v[46:47]
	v_fma_f64 v[58:59], v[42:43], s[18:19], -v[120:121]
	v_mul_f64 v[62:63], v[40:41], s[50:51]
	v_fma_f64 v[120:121], v[42:43], s[18:19], v[120:121]
	s_mov_b32 s49, 0x3fe58eea
	s_mov_b32 s48, s42
	v_add_f64 v[102:103], v[146:147], v[132:133]
	v_add_f64 v[114:115], v[148:149], v[134:135]
	v_fma_f64 v[124:125], v[42:43], s[34:35], -v[122:123]
	v_mul_f64 v[126:127], v[40:41], s[48:49]
	v_add_f64 v[46:47], v[46:47], v[60:61]
	v_fma_f64 v[60:61], v[42:43], s[34:35], v[122:123]
	v_fma_f64 v[122:123], v[42:43], s[14:15], -v[62:63]
	v_add_f64 v[58:59], v[58:59], v[64:65]
	v_add_f64 v[64:65], v[120:121], v[66:67]
	v_fma_f64 v[62:63], v[42:43], s[14:15], v[62:63]
	v_mul_f64 v[120:121], v[40:41], s[26:27]
	v_add_f64 v[106:107], v[150:151], v[136:137]
	v_add_f64 v[44:45], v[44:45], v[138:139]
	;; [unrolled: 1-line block ×3, first 2 shown]
	v_fma_f64 v[102:103], v[42:43], s[8:9], -v[126:127]
	v_add_f64 v[60:61], v[60:61], v[104:105]
	v_add_f64 v[104:105], v[122:123], v[114:115]
	v_mul_f64 v[114:115], v[40:41], s[38:39]
	v_add_f64 v[50:51], v[62:63], v[50:51]
	v_add_f64 v[32:33], v[36:37], -v[32:33]
	v_fma_f64 v[62:63], v[42:43], s[16:17], -v[120:121]
	v_mul_f64 v[40:41], v[40:41], s[30:31]
	v_fma_f64 v[122:123], v[42:43], s[8:9], v[126:127]
	v_add_f64 v[36:37], v[102:103], v[106:107]
	v_fma_f64 v[102:103], v[42:43], s[16:17], v[120:121]
	v_fma_f64 v[106:107], v[42:43], s[6:7], -v[114:115]
	v_add_f64 v[34:35], v[34:35], v[38:39]
	v_mul_f64 v[38:39], v[32:33], s[38:39]
	v_fma_f64 v[114:115], v[42:43], s[6:7], v[114:115]
	v_add_f64 v[44:45], v[62:63], v[44:45]
	v_fma_f64 v[62:63], v[42:43], s[28:29], -v[40:41]
	v_fma_f64 v[40:41], v[42:43], s[28:29], v[40:41]
	v_mul_f64 v[42:43], v[32:33], s[40:41]
	v_add_f64 v[118:119], v[118:119], v[142:143]
	v_add_f64 v[102:103], v[102:103], v[110:111]
	;; [unrolled: 1-line block ×3, first 2 shown]
	v_fma_f64 v[110:111], v[34:35], s[6:7], -v[38:39]
	v_add_f64 v[112:113], v[114:115], v[112:113]
	v_mul_f64 v[114:115], v[32:33], s[50:51]
	v_fma_f64 v[38:39], v[34:35], s[6:7], v[38:39]
	v_mul_f64 v[116:117], v[32:33], s[46:47]
	v_add_f64 v[40:41], v[40:41], v[52:53]
	v_fma_f64 v[52:53], v[34:35], s[34:35], -v[42:43]
	v_add_f64 v[62:63], v[62:63], v[118:119]
	v_add_f64 v[54:55], v[110:111], v[54:55]
	v_fma_f64 v[42:43], v[34:35], s[34:35], v[42:43]
	v_fma_f64 v[110:111], v[34:35], s[14:15], -v[114:115]
	v_fma_f64 v[114:115], v[34:35], s[14:15], v[114:115]
	v_add_f64 v[38:39], v[38:39], v[46:47]
	v_fma_f64 v[46:47], v[34:35], s[16:17], -v[116:117]
	v_mul_f64 v[118:119], v[32:33], s[44:45]
	v_add_f64 v[52:53], v[52:53], v[58:59]
	v_mul_f64 v[58:59], v[32:33], s[30:31]
	s_mov_b32 s55, 0x3fe9895b
	s_mov_b32 s54, s24
	v_add_f64 v[108:109], v[122:123], v[108:109]
	v_add_f64 v[42:43], v[42:43], v[64:65]
	v_add_f64 v[64:65], v[110:111], v[66:67]
	v_add_f64 v[60:61], v[114:115], v[60:61]
	v_fma_f64 v[66:67], v[34:35], s[16:17], v[116:117]
	v_add_f64 v[46:47], v[46:47], v[104:105]
	v_fma_f64 v[104:105], v[34:35], s[0:1], -v[118:119]
	v_fma_f64 v[110:111], v[34:35], s[0:1], v[118:119]
	v_fma_f64 v[114:115], v[34:35], s[28:29], -v[58:59]
	v_mul_f64 v[116:117], v[32:33], s[54:55]
	v_mul_f64 v[32:33], v[32:33], s[48:49]
	v_add_f64 v[24:25], v[28:29], -v[24:25]
	v_fma_f64 v[58:59], v[34:35], s[28:29], v[58:59]
	v_add_f64 v[50:51], v[66:67], v[50:51]
	v_add_f64 v[36:37], v[104:105], v[36:37]
	;; [unrolled: 1-line block ×4, first 2 shown]
	v_fma_f64 v[66:67], v[34:35], s[18:19], -v[116:117]
	v_fma_f64 v[104:105], v[34:35], s[18:19], v[116:117]
	v_fma_f64 v[108:109], v[34:35], s[8:9], -v[32:33]
	v_mul_f64 v[30:31], v[24:25], s[22:23]
	v_fma_f64 v[32:33], v[34:35], s[8:9], v[32:33]
	v_add_f64 v[34:35], v[58:59], v[102:103]
	v_mul_f64 v[58:59], v[24:25], s[52:53]
	v_mul_f64 v[102:103], v[24:25], s[48:49]
	v_add_f64 v[66:67], v[66:67], v[106:107]
	v_mul_f64 v[110:111], v[24:25], s[44:45]
	v_add_f64 v[62:63], v[108:109], v[62:63]
	v_fma_f64 v[106:107], v[26:27], s[14:15], -v[30:31]
	v_add_f64 v[32:33], v[32:33], v[40:41]
	v_fma_f64 v[30:31], v[26:27], s[14:15], v[30:31]
	v_fma_f64 v[40:41], v[26:27], s[28:29], -v[58:59]
	v_fma_f64 v[58:59], v[26:27], s[28:29], v[58:59]
	v_fma_f64 v[108:109], v[26:27], s[8:9], -v[102:103]
	v_fma_f64 v[102:103], v[26:27], s[8:9], v[102:103]
	s_mov_b32 s45, 0x3fefdd0d
	v_add_f64 v[54:55], v[106:107], v[54:55]
	v_mul_f64 v[106:107], v[24:25], s[40:41]
	v_add_f64 v[30:31], v[30:31], v[38:39]
	v_add_f64 v[38:39], v[40:41], v[52:53]
	v_fma_f64 v[52:53], v[26:27], s[0:1], -v[110:111]
	s_mov_b32 s44, s38
	v_add_f64 v[40:41], v[58:59], v[42:43]
	v_add_f64 v[42:43], v[108:109], v[64:65]
	;; [unrolled: 1-line block ×3, first 2 shown]
	v_fma_f64 v[60:61], v[26:27], s[0:1], v[110:111]
	v_fma_f64 v[64:65], v[26:27], s[34:35], -v[106:107]
	v_mul_f64 v[102:103], v[24:25], s[44:45]
	v_add_f64 v[46:47], v[52:53], v[46:47]
	v_mul_f64 v[52:53], v[24:25], s[26:27]
	v_add_f64 v[16:17], v[20:21], -v[16:17]
	v_mul_f64 v[20:21], v[24:25], s[24:25]
	v_add_f64 v[44:45], v[114:115], v[44:45]
	v_add_f64 v[50:51], v[60:61], v[50:51]
	;; [unrolled: 1-line block ×3, first 2 shown]
	v_fma_f64 v[24:25], v[26:27], s[6:7], -v[102:103]
	v_fma_f64 v[60:61], v[26:27], s[6:7], v[102:103]
	v_fma_f64 v[64:65], v[26:27], s[16:17], -v[52:53]
	v_add_f64 v[18:19], v[18:19], v[22:23]
	v_mul_f64 v[22:23], v[16:17], s[24:25]
	v_fma_f64 v[102:103], v[26:27], s[18:19], -v[20:21]
	v_fma_f64 v[20:21], v[26:27], s[18:19], v[20:21]
	v_fma_f64 v[106:107], v[26:27], s[34:35], v[106:107]
	v_fma_f64 v[52:53], v[26:27], s[16:17], v[52:53]
	v_add_f64 v[24:25], v[24:25], v[44:45]
	v_add_f64 v[26:27], v[60:61], v[34:35]
	;; [unrolled: 1-line block ×3, first 2 shown]
	v_mul_f64 v[44:45], v[16:17], s[50:51]
	v_fma_f64 v[60:61], v[18:19], s[18:19], -v[22:23]
	v_mul_f64 v[64:65], v[16:17], s[26:27]
	v_add_f64 v[20:21], v[20:21], v[32:33]
	v_fma_f64 v[22:23], v[18:19], s[18:19], v[22:23]
	v_mul_f64 v[32:33], v[16:17], s[30:31]
	v_add_f64 v[62:63], v[102:103], v[62:63]
	v_add_f64 v[104:105], v[104:105], v[112:113]
	v_fma_f64 v[66:67], v[18:19], s[14:15], -v[44:45]
	v_fma_f64 v[44:45], v[18:19], s[14:15], v[44:45]
	v_add_f64 v[54:55], v[60:61], v[54:55]
	v_mul_f64 v[60:61], v[16:17], s[44:45]
	v_fma_f64 v[102:103], v[18:19], s[16:17], -v[64:65]
	v_fma_f64 v[64:65], v[18:19], s[16:17], v[64:65]
	v_add_f64 v[22:23], v[22:23], v[30:31]
	v_fma_f64 v[30:31], v[18:19], s[28:29], -v[32:33]
	v_add_f64 v[28:29], v[106:107], v[28:29]
	v_add_f64 v[40:41], v[44:45], v[40:41]
	v_fma_f64 v[32:33], v[18:19], s[28:29], v[32:33]
	v_fma_f64 v[44:45], v[18:19], s[6:7], -v[60:61]
	v_add_f64 v[8:9], v[12:13], -v[8:9]
	v_add_f64 v[58:59], v[64:65], v[58:59]
	v_mul_f64 v[64:65], v[16:17], s[42:43]
	v_add_f64 v[30:31], v[30:31], v[46:47]
	v_fma_f64 v[46:47], v[18:19], s[6:7], v[60:61]
	v_mul_f64 v[60:61], v[16:17], s[40:41]
	v_mul_f64 v[12:13], v[16:17], s[36:37]
	v_add_f64 v[52:53], v[52:53], v[104:105]
	v_add_f64 v[32:33], v[32:33], v[50:51]
	;; [unrolled: 1-line block ×3, first 2 shown]
	v_fma_f64 v[16:17], v[18:19], s[8:9], -v[64:65]
	v_fma_f64 v[44:45], v[18:19], s[8:9], v[64:65]
	v_add_f64 v[28:29], v[46:47], v[28:29]
	v_fma_f64 v[46:47], v[18:19], s[34:35], -v[60:61]
	v_fma_f64 v[50:51], v[18:19], s[34:35], v[60:61]
	v_add_f64 v[10:11], v[10:11], v[14:15]
	v_mul_f64 v[14:15], v[8:9], s[30:31]
	v_fma_f64 v[60:61], v[18:19], s[0:1], -v[12:13]
	v_fma_f64 v[12:13], v[18:19], s[0:1], v[12:13]
	v_mul_f64 v[18:19], v[8:9], s[36:37]
	v_add_f64 v[16:17], v[16:17], v[24:25]
	v_add_f64 v[24:25], v[44:45], v[26:27]
	;; [unrolled: 1-line block ×4, first 2 shown]
	v_fma_f64 v[44:45], v[10:11], s[28:29], -v[14:15]
	v_mul_f64 v[50:51], v[8:9], s[38:39]
	v_fma_f64 v[14:15], v[10:11], s[28:29], v[14:15]
	v_add_f64 v[38:39], v[66:67], v[38:39]
	v_add_f64 v[12:13], v[12:13], v[20:21]
	v_fma_f64 v[20:21], v[10:11], s[0:1], -v[18:19]
	v_fma_f64 v[18:19], v[10:11], s[0:1], v[18:19]
	v_mul_f64 v[52:53], v[8:9], s[54:55]
	v_add_f64 v[44:45], v[44:45], v[54:55]
	v_mul_f64 v[54:55], v[8:9], s[26:27]
	v_add_f64 v[14:15], v[14:15], v[22:23]
	v_fma_f64 v[22:23], v[10:11], s[6:7], v[50:51]
	v_add_f64 v[46:47], v[60:61], v[62:63]
	v_add_f64 v[20:21], v[20:21], v[38:39]
	;; [unrolled: 1-line block ×3, first 2 shown]
	v_fma_f64 v[38:39], v[10:11], s[18:19], -v[52:53]
	v_fma_f64 v[40:41], v[10:11], s[18:19], v[52:53]
	v_mul_f64 v[52:53], v[8:9], s[40:41]
	v_fma_f64 v[60:61], v[10:11], s[6:7], -v[50:51]
	v_add_f64 v[22:23], v[22:23], v[58:59]
	v_mul_f64 v[58:59], v[8:9], s[48:49]
	v_fma_f64 v[50:51], v[10:11], s[16:17], -v[54:55]
	v_add_f64 v[0:1], v[4:5], -v[0:1]
	v_add_f64 v[30:31], v[38:39], v[30:31]
	v_mul_f64 v[8:9], v[8:9], s[22:23]
	v_fma_f64 v[4:5], v[10:11], s[34:35], -v[52:53]
	v_fma_f64 v[38:39], v[10:11], s[34:35], v[52:53]
	v_add_f64 v[32:33], v[40:41], v[32:33]
	v_fma_f64 v[40:41], v[10:11], s[8:9], -v[58:59]
	v_add_f64 v[36:37], v[50:51], v[36:37]
	v_fma_f64 v[50:51], v[10:11], s[8:9], v[58:59]
	v_add_f64 v[2:3], v[2:3], v[6:7]
	v_mul_f64 v[6:7], v[0:1], s[40:41]
	v_add_f64 v[4:5], v[4:5], v[16:17]
	v_add_f64 v[16:17], v[38:39], v[24:25]
	v_mul_f64 v[24:25], v[0:1], s[46:47]
	v_fma_f64 v[38:39], v[10:11], s[14:15], -v[8:9]
	v_add_f64 v[42:43], v[102:103], v[42:43]
	v_add_f64 v[26:27], v[40:41], v[26:27]
	v_fma_f64 v[8:9], v[10:11], s[14:15], v[8:9]
	v_mul_f64 v[40:41], v[0:1], s[30:31]
	v_fma_f64 v[54:55], v[10:11], s[16:17], v[54:55]
	v_add_f64 v[34:35], v[50:51], v[34:35]
	v_fma_f64 v[10:11], v[2:3], s[34:35], -v[6:7]
	v_fma_f64 v[6:7], v[2:3], s[34:35], v[6:7]
	v_fma_f64 v[50:51], v[2:3], s[16:17], -v[24:25]
	v_fma_f64 v[24:25], v[2:3], s[16:17], v[24:25]
	v_add_f64 v[38:39], v[38:39], v[46:47]
	v_mul_f64 v[46:47], v[0:1], s[48:49]
	v_add_f64 v[42:43], v[60:61], v[42:43]
	v_add_f64 v[8:9], v[8:9], v[12:13]
	v_fma_f64 v[12:13], v[2:3], s[28:29], -v[40:41]
	v_add_f64 v[10:11], v[10:11], v[44:45]
	v_add_f64 v[6:7], v[6:7], v[14:15]
	;; [unrolled: 1-line block ×4, first 2 shown]
	v_fma_f64 v[20:21], v[2:3], s[28:29], v[40:41]
	v_fma_f64 v[24:25], v[2:3], s[8:9], -v[46:47]
	v_mul_f64 v[44:45], v[0:1], s[24:25]
	v_fma_f64 v[40:41], v[2:3], s[8:9], v[46:47]
	v_mul_f64 v[46:47], v[0:1], s[36:37]
	v_add_f64 v[12:13], v[12:13], v[42:43]
	v_mul_f64 v[42:43], v[0:1], s[22:23]
	v_mul_f64 v[0:1], v[0:1], s[44:45]
	v_add_f64 v[20:21], v[20:21], v[22:23]
	v_add_f64 v[22:23], v[24:25], v[30:31]
	v_fma_f64 v[30:31], v[2:3], s[18:19], -v[44:45]
	v_add_f64 v[24:25], v[40:41], v[32:33]
	v_fma_f64 v[32:33], v[2:3], s[0:1], -v[46:47]
	v_fma_f64 v[40:41], v[2:3], s[0:1], v[46:47]
	v_fma_f64 v[46:47], v[2:3], s[14:15], -v[42:43]
	v_fma_f64 v[50:51], v[2:3], s[6:7], -v[0:1]
	v_fma_f64 v[0:1], v[2:3], s[6:7], v[0:1]
	v_fma_f64 v[42:43], v[2:3], s[14:15], v[42:43]
	v_add_f64 v[28:29], v[54:55], v[28:29]
	v_fma_f64 v[2:3], v[2:3], s[18:19], v[44:45]
	v_add_f64 v[30:31], v[30:31], v[36:37]
	v_add_f64 v[4:5], v[32:33], v[4:5]
	;; [unrolled: 1-line block ×8, first 2 shown]
	v_lshl_add_u32 v28, v94, 7, v56
	ds_write2_b64 v28, v[48:49], v[10:11] offset1:1
	ds_write2_b64 v28, v[14:15], v[12:13] offset0:2 offset1:3
	ds_write2_b64 v28, v[22:23], v[30:31] offset0:4 offset1:5
	;; [unrolled: 1-line block ×7, first 2 shown]
	ds_write_b64 v28, v[6:7] offset:128
.LBB0_15:
	s_or_b64 exec, exec, s[2:3]
	s_movk_i32 s0, 0xf1
	v_mul_lo_u16_sdwa v1, v94, s0 dst_sel:DWORD dst_unused:UNUSED_PAD src0_sel:BYTE_0 src1_sel:DWORD
	v_lshrrev_b16_e32 v23, 12, v1
	v_mul_lo_u16_e32 v1, 17, v23
	v_sub_u16_e32 v95, v94, v1
	v_mov_b32_e32 v112, 5
	v_add_u32_e32 v24, 0x99, v94
	v_lshlrev_b32_sdwa v9, v112, v95 dst_sel:DWORD dst_unused:UNUSED_PAD src0_sel:DWORD src1_sel:BYTE_0
	s_mov_b32 s0, 0xf0f1
	s_load_dwordx2 s[6:7], s[4:5], 0x0
	s_waitcnt lgkmcnt(0)
	s_barrier
	global_load_dwordx4 v[1:4], v9, s[12:13] offset:16
	global_load_dwordx4 v[5:8], v9, s[12:13]
	v_mul_u32_u24_sdwa v9, v24, s0 dst_sel:DWORD dst_unused:UNUSED_PAD src0_sel:WORD_0 src1_sel:DWORD
	v_lshrrev_b32_e32 v113, 20, v9
	v_mul_lo_u16_e32 v9, 17, v113
	v_sub_u16_e32 v114, v24, v9
	v_add_u32_e32 v25, 0x132, v94
	v_lshlrev_b32_e32 v17, 5, v114
	global_load_dwordx4 v[9:12], v17, s[12:13] offset:16
	global_load_dwordx4 v[13:16], v17, s[12:13]
	v_mul_u32_u24_sdwa v17, v25, s0 dst_sel:DWORD dst_unused:UNUSED_PAD src0_sel:WORD_0 src1_sel:DWORD
	v_lshrrev_b32_e32 v115, 20, v17
	v_mul_lo_u16_e32 v17, 17, v115
	v_sub_u16_e32 v116, v25, v17
	v_lshlrev_b32_e32 v21, 5, v116
	global_load_dwordx4 v[17:20], v21, s[12:13] offset:16
	global_load_dwordx4 v[26:29], v21, s[12:13]
	v_add_u32_e32 v0, 0x1cb, v94
	v_mul_u32_u24_sdwa v21, v0, s0 dst_sel:DWORD dst_unused:UNUSED_PAD src0_sel:WORD_0 src1_sel:DWORD
	v_lshrrev_b32_e32 v117, 20, v21
	v_mul_lo_u16_e32 v21, 17, v117
	v_sub_u16_e32 v118, v0, v21
	v_lshlrev_b32_e32 v21, 5, v118
	global_load_dwordx4 v[30:33], v21, s[12:13]
	global_load_dwordx4 v[34:37], v21, s[12:13] offset:16
	ds_read2_b64 v[38:41], v56 offset1:153
	ds_read2_b64 v[42:45], v98 offset0:100 offset1:253
	ds_read2_b64 v[46:49], v99 offset0:72 offset1:225
	;; [unrolled: 1-line block ×5, first 2 shown]
	s_mov_b32 s2, 0xe8584caa
	s_mov_b32 s3, 0xbfebb67a
	;; [unrolled: 1-line block ×4, first 2 shown]
	s_waitcnt vmcnt(0) lgkmcnt(0)
	s_barrier
	s_movk_i32 s0, 0xa1
	v_mul_f64 v[54:55], v[46:47], v[3:4]
	v_mul_f64 v[21:22], v[42:43], v[7:8]
	;; [unrolled: 1-line block ×8, first 2 shown]
	v_fma_f64 v[21:22], v[84:85], v[5:6], v[21:22]
	v_fma_f64 v[5:6], v[42:43], v[5:6], -v[7:8]
	v_mul_f64 v[106:107], v[62:63], v[19:20]
	v_mul_f64 v[104:105], v[58:59], v[28:29]
	;; [unrolled: 1-line block ×4, first 2 shown]
	v_fma_f64 v[7:8], v[88:89], v[1:2], v[54:55]
	v_fma_f64 v[1:2], v[46:47], v[1:2], -v[3:4]
	v_fma_f64 v[3:4], v[86:87], v[13:14], v[66:67]
	v_mul_f64 v[108:109], v[60:61], v[32:33]
	v_mul_f64 v[32:33], v[78:79], v[32:33]
	;; [unrolled: 1-line block ×4, first 2 shown]
	v_fma_f64 v[13:14], v[44:45], v[13:14], -v[15:16]
	v_fma_f64 v[15:16], v[90:91], v[9:10], v[102:103]
	v_fma_f64 v[9:10], v[48:49], v[9:10], -v[11:12]
	v_fma_f64 v[11:12], v[76:77], v[26:27], v[104:105]
	;; [unrolled: 2-line block ×5, first 2 shown]
	v_fma_f64 v[34:35], v[64:65], v[34:35], -v[36:37]
	v_add_f64 v[36:37], v[72:73], v[21:22]
	v_add_f64 v[42:43], v[21:22], v[7:8]
	v_add_f64 v[44:45], v[5:6], -v[1:2]
	v_add_f64 v[46:47], v[38:39], v[5:6]
	v_add_f64 v[5:6], v[5:6], v[1:2]
	v_add_f64 v[58:59], v[13:14], -v[9:10]
	v_add_f64 v[60:61], v[40:41], v[13:14]
	v_add_f64 v[13:14], v[13:14], v[9:10]
	;; [unrolled: 1-line block ×5, first 2 shown]
	v_add_f64 v[21:22], v[21:22], -v[7:8]
	v_add_f64 v[3:4], v[3:4], -v[15:16]
	v_add_f64 v[62:63], v[68:69], v[11:12]
	v_add_f64 v[66:67], v[26:27], -v[17:18]
	v_add_f64 v[76:77], v[50:51], v[26:27]
	v_add_f64 v[26:27], v[26:27], v[17:18]
	;; [unrolled: 1-line block ×5, first 2 shown]
	v_fma_f64 v[36:37], v[42:43], -0.5, v[72:73]
	v_add_f64 v[42:43], v[46:47], v[1:2]
	v_fma_f64 v[1:2], v[5:6], -0.5, v[38:39]
	v_add_f64 v[38:39], v[60:61], v[9:10]
	v_fma_f64 v[9:10], v[13:14], -0.5, v[40:41]
	v_fma_f64 v[40:41], v[64:65], -0.5, v[68:69]
	v_add_f64 v[5:6], v[48:49], v[15:16]
	v_fma_f64 v[15:16], v[54:55], -0.5, v[74:75]
	v_add_f64 v[13:14], v[62:63], v[28:29]
	v_fma_f64 v[26:27], v[26:27], -0.5, v[50:51]
	v_add_f64 v[11:12], v[11:12], -v[28:29]
	v_add_f64 v[28:29], v[70:71], v[19:20]
	v_fma_f64 v[48:49], v[3:4], s[4:5], v[9:10]
	v_fma_f64 v[54:55], v[3:4], s[2:3], v[9:10]
	;; [unrolled: 1-line block ×4, first 2 shown]
	v_fma_f64 v[40:41], v[78:79], -0.5, v[70:71]
	v_add_f64 v[50:51], v[30:31], -v[34:35]
	v_add_f64 v[30:31], v[52:53], v[30:31]
	v_fma_f64 v[52:53], v[80:81], -0.5, v[52:53]
	v_add_f64 v[19:20], v[19:20], -v[32:33]
	v_fma_f64 v[46:47], v[44:45], s[2:3], v[36:37]
	v_fma_f64 v[36:37], v[44:45], s[4:5], v[36:37]
	v_fma_f64 v[44:45], v[21:22], s[4:5], v[1:2]
	v_fma_f64 v[21:22], v[21:22], s[2:3], v[1:2]
	v_fma_f64 v[1:2], v[58:59], s[2:3], v[15:16]
	v_fma_f64 v[15:16], v[58:59], s[4:5], v[15:16]
	v_add_f64 v[58:59], v[76:77], v[17:18]
	v_fma_f64 v[60:61], v[11:12], s[4:5], v[26:27]
	v_fma_f64 v[62:63], v[11:12], s[2:3], v[26:27]
	v_add_f64 v[11:12], v[28:29], v[32:33]
	v_fma_f64 v[17:18], v[50:51], s[2:3], v[40:41]
	v_fma_f64 v[26:27], v[50:51], s[4:5], v[40:41]
	;; [unrolled: 3-line block ×3, first 2 shown]
	v_mul_u32_u24_e32 v19, 0x198, v23
	v_mov_b32_e32 v23, 3
	v_lshlrev_b32_sdwa v20, v23, v95 dst_sel:DWORD dst_unused:UNUSED_PAD src0_sel:DWORD src1_sel:BYTE_0
	v_add3_u32 v35, 0, v19, v20
	ds_write2_b64 v35, v[7:8], v[46:47] offset1:17
	ds_write_b64 v35, v[36:37] offset:272
	v_mul_u32_u24_e32 v7, 0x198, v113
	v_lshlrev_b32_e32 v8, 3, v114
	v_add3_u32 v36, 0, v7, v8
	ds_write2_b64 v36, v[5:6], v[1:2] offset1:17
	ds_write_b64 v36, v[15:16] offset:272
	v_mul_u32_u24_e32 v1, 0x198, v115
	v_lshlrev_b32_e32 v2, 3, v116
	v_add3_u32 v37, 0, v1, v2
	v_mul_u32_u24_e32 v1, 0x198, v117
	v_lshlrev_b32_e32 v2, 3, v118
	v_add3_u32 v46, 0, v1, v2
	ds_write2_b64 v37, v[13:14], v[3:4] offset1:17
	ds_write_b64 v37, v[9:10] offset:272
	ds_write2_b64 v46, v[11:12], v[17:18] offset1:17
	ds_write_b64 v46, v[26:27] offset:272
	s_waitcnt lgkmcnt(0)
	s_barrier
	ds_read2_b64 v[1:4], v56 offset1:153
	ds_read2_b64 v[5:8], v98 offset0:100 offset1:253
	ds_read2_b64 v[9:12], v99 offset0:72 offset1:225
	;; [unrolled: 1-line block ×5, first 2 shown]
	s_waitcnt lgkmcnt(0)
	s_barrier
	ds_write2_b64 v35, v[42:43], v[44:45] offset1:17
	ds_write_b64 v35, v[21:22] offset:272
	ds_write2_b64 v36, v[38:39], v[48:49] offset1:17
	ds_write_b64 v36, v[54:55] offset:272
	ds_write2_b64 v37, v[58:59], v[60:61] offset1:17
	ds_write_b64 v37, v[62:63] offset:272
	ds_write2_b64 v46, v[31:32], v[33:34] offset1:17
	ds_write_b64 v46, v[40:41] offset:272
	v_mul_lo_u16_sdwa v21, v94, s0 dst_sel:DWORD dst_unused:UNUSED_PAD src0_sel:BYTE_0 src1_sel:DWORD
	v_lshrrev_b16_e32 v55, 13, v21
	v_mul_lo_u16_e32 v21, 51, v55
	v_sub_u16_e32 v95, v94, v21
	v_lshlrev_b32_sdwa v21, v112, v95 dst_sel:DWORD dst_unused:UNUSED_PAD src0_sel:DWORD src1_sel:BYTE_0
	s_waitcnt lgkmcnt(0)
	s_barrier
	global_load_dwordx4 v[31:34], v21, s[12:13] offset:560
	global_load_dwordx4 v[35:38], v21, s[12:13] offset:544
	s_mov_b32 s0, 0xa0a1
	v_mul_u32_u24_sdwa v21, v24, s0 dst_sel:DWORD dst_unused:UNUSED_PAD src0_sel:WORD_0 src1_sel:DWORD
	v_lshrrev_b32_e32 v104, 21, v21
	v_mul_lo_u16_e32 v21, 51, v104
	v_sub_u16_e32 v105, v24, v21
	v_lshlrev_b32_e32 v21, 5, v105
	global_load_dwordx4 v[39:42], v21, s[12:13] offset:544
	global_load_dwordx4 v[43:46], v21, s[12:13] offset:560
	v_mul_u32_u24_sdwa v21, v25, s0 dst_sel:DWORD dst_unused:UNUSED_PAD src0_sel:WORD_0 src1_sel:DWORD
	v_lshrrev_b32_e32 v106, 21, v21
	v_mul_lo_u16_e32 v21, 51, v106
	v_sub_u16_e32 v107, v25, v21
	v_lshlrev_b32_e32 v21, 5, v107
	global_load_dwordx4 v[47:50], v21, s[12:13] offset:544
	global_load_dwordx4 v[51:54], v21, s[12:13] offset:560
	;; [unrolled: 7-line block ×3, first 2 shown]
	ds_read2_b64 v[66:69], v98 offset0:100 offset1:253
	ds_read2_b64 v[70:73], v99 offset0:72 offset1:225
	ds_read2_b64 v[74:77], v56 offset1:153
	ds_read2_b64 v[86:89], v101 offset0:58 offset1:211
	ds_read2_b64 v[82:85], v100 offset0:22 offset1:175
	;; [unrolled: 1-line block ×3, first 2 shown]
	s_waitcnt vmcnt(0) lgkmcnt(0)
	s_barrier
	v_add_u32_e32 v26, 0x264, v94
	v_mul_f64 v[90:91], v[70:71], v[33:34]
	v_mul_f64 v[21:22], v[66:67], v[37:38]
	;; [unrolled: 1-line block ×5, first 2 shown]
	v_fma_f64 v[9:10], v[9:10], v[31:32], v[90:91]
	v_fma_f64 v[5:6], v[5:6], v[35:36], v[21:22]
	v_fma_f64 v[21:22], v[66:67], v[35:36], -v[37:38]
	v_mul_f64 v[35:36], v[7:8], v[41:42]
	v_mul_f64 v[37:38], v[72:73], v[45:46]
	v_fma_f64 v[31:32], v[70:71], v[31:32], -v[33:34]
	v_mul_f64 v[33:34], v[11:12], v[45:46]
	v_fma_f64 v[7:8], v[7:8], v[39:40], v[102:103]
	v_mul_f64 v[41:42], v[82:83], v[49:50]
	v_mul_f64 v[45:46], v[17:18], v[49:50]
	v_add_f64 v[49:50], v[1:2], v[5:6]
	v_fma_f64 v[35:36], v[68:69], v[39:40], -v[35:36]
	v_mul_f64 v[39:40], v[86:87], v[53:54]
	v_fma_f64 v[11:12], v[11:12], v[43:44], v[37:38]
	v_mul_f64 v[37:38], v[27:28], v[53:54]
	v_fma_f64 v[33:34], v[72:73], v[43:44], -v[33:34]
	v_mul_f64 v[43:44], v[84:85], v[60:61]
	v_fma_f64 v[17:18], v[17:18], v[47:48], v[41:42]
	v_fma_f64 v[41:42], v[82:83], v[47:48], -v[45:46]
	v_mul_f64 v[47:48], v[88:89], v[64:65]
	v_fma_f64 v[27:28], v[27:28], v[51:52], v[39:40]
	v_add_f64 v[39:40], v[5:6], v[9:10]
	v_fma_f64 v[37:38], v[86:87], v[51:52], -v[37:38]
	v_add_f64 v[51:52], v[21:22], v[31:32]
	v_mul_f64 v[45:46], v[19:20], v[60:61]
	v_fma_f64 v[19:20], v[19:20], v[58:59], v[43:44]
	v_mul_f64 v[43:44], v[29:30], v[64:65]
	v_fma_f64 v[29:30], v[29:30], v[62:63], v[47:48]
	v_add_f64 v[47:48], v[49:50], v[9:10]
	v_fma_f64 v[1:2], v[39:40], -0.5, v[1:2]
	v_add_f64 v[39:40], v[21:22], -v[31:32]
	v_add_f64 v[21:22], v[74:75], v[21:22]
	v_add_f64 v[49:50], v[7:8], v[11:12]
	v_fma_f64 v[51:52], v[51:52], -0.5, v[74:75]
	v_add_f64 v[5:6], v[5:6], -v[9:10]
	v_fma_f64 v[45:46], v[84:85], v[58:59], -v[45:46]
	v_add_f64 v[58:59], v[17:18], v[27:28]
	v_fma_f64 v[43:44], v[88:89], v[62:63], -v[43:44]
	v_fma_f64 v[9:10], v[39:40], s[2:3], v[1:2]
	v_fma_f64 v[1:2], v[39:40], s[4:5], v[1:2]
	v_add_f64 v[21:22], v[21:22], v[31:32]
	v_add_f64 v[31:32], v[35:36], v[33:34]
	;; [unrolled: 1-line block ×3, first 2 shown]
	v_fma_f64 v[3:4], v[49:50], -0.5, v[3:4]
	v_add_f64 v[49:50], v[35:36], -v[33:34]
	v_fma_f64 v[53:54], v[5:6], s[4:5], v[51:52]
	v_fma_f64 v[51:52], v[5:6], s[2:3], v[51:52]
	v_add_f64 v[5:6], v[76:77], v[35:36]
	v_add_f64 v[7:8], v[7:8], -v[11:12]
	v_fma_f64 v[31:32], v[31:32], -0.5, v[76:77]
	v_add_f64 v[11:12], v[39:40], v[11:12]
	v_add_f64 v[39:40], v[13:14], v[17:18]
	v_fma_f64 v[13:14], v[58:59], -0.5, v[13:14]
	v_add_f64 v[58:59], v[41:42], -v[37:38]
	v_fma_f64 v[35:36], v[49:50], s[2:3], v[3:4]
	v_fma_f64 v[3:4], v[49:50], s[4:5], v[3:4]
	v_add_f64 v[33:34], v[5:6], v[33:34]
	v_fma_f64 v[49:50], v[7:8], s[4:5], v[31:32]
	v_add_f64 v[5:6], v[41:42], v[37:38]
	;; [unrolled: 2-line block ×3, first 2 shown]
	v_add_f64 v[39:40], v[19:20], v[29:30]
	v_fma_f64 v[60:61], v[58:59], s[2:3], v[13:14]
	v_fma_f64 v[13:14], v[58:59], s[4:5], v[13:14]
	v_add_f64 v[58:59], v[45:46], v[43:44]
	v_add_f64 v[41:42], v[78:79], v[41:42]
	v_fma_f64 v[5:6], v[5:6], -0.5, v[78:79]
	v_add_f64 v[17:18], v[17:18], -v[27:28]
	v_add_f64 v[27:28], v[15:16], v[19:20]
	v_fma_f64 v[15:16], v[39:40], -0.5, v[15:16]
	v_add_f64 v[39:40], v[45:46], -v[43:44]
	;; [unrolled: 3-line block ×3, first 2 shown]
	v_add_f64 v[37:38], v[41:42], v[37:38]
	v_fma_f64 v[41:42], v[17:18], s[4:5], v[5:6]
	v_fma_f64 v[62:63], v[17:18], s[2:3], v[5:6]
	v_add_f64 v[5:6], v[27:28], v[29:30]
	v_fma_f64 v[17:18], v[39:40], s[2:3], v[15:16]
	v_fma_f64 v[15:16], v[39:40], s[4:5], v[15:16]
	;; [unrolled: 3-line block ×3, first 2 shown]
	v_mul_u32_u24_e32 v19, 0x4c8, v55
	v_lshlrev_b32_sdwa v20, v23, v95 dst_sel:DWORD dst_unused:UNUSED_PAD src0_sel:DWORD src1_sel:BYTE_0
	v_add3_u32 v23, 0, v19, v20
	ds_write2_b64 v23, v[47:48], v[9:10] offset1:51
	ds_write_b64 v23, v[1:2] offset:816
	v_mul_u32_u24_e32 v1, 0x4c8, v104
	v_lshlrev_b32_e32 v2, 3, v105
	v_add3_u32 v47, 0, v1, v2
	v_mul_u32_u24_e32 v1, 0x4c8, v106
	v_lshlrev_b32_e32 v2, 3, v107
	ds_write2_b64 v47, v[11:12], v[35:36] offset1:51
	ds_write_b64 v47, v[3:4] offset:816
	v_add3_u32 v35, 0, v1, v2
	v_mul_u32_u24_e32 v1, 0x4c8, v108
	v_lshlrev_b32_e32 v2, 3, v109
	v_add3_u32 v36, 0, v1, v2
	v_mov_b32_e32 v95, 0
	ds_write2_b64 v35, v[7:8], v[60:61] offset1:51
	ds_write_b64 v35, v[13:14] offset:816
	ds_write2_b64 v36, v[5:6], v[17:18] offset1:51
	ds_write_b64 v36, v[15:16] offset:816
	s_waitcnt lgkmcnt(0)
	s_barrier
	ds_read2_b64 v[1:4], v56 offset1:153
	ds_read2_b64 v[5:8], v100 offset0:22 offset1:175
	ds_read2_b64 v[9:12], v57 offset0:50 offset1:203
	;; [unrolled: 1-line block ×5, first 2 shown]
	s_waitcnt lgkmcnt(0)
	s_barrier
	ds_write2_b64 v23, v[21:22], v[53:54] offset1:51
	ds_write_b64 v23, v[51:52] offset:816
	ds_write2_b64 v47, v[33:34], v[49:50] offset1:51
	ds_write_b64 v47, v[31:32] offset:816
	;; [unrolled: 2-line block ×4, first 2 shown]
	v_lshlrev_b64 v[21:22], 4, v[94:95]
	v_mov_b32_e32 v23, s13
	v_add_co_u32_e64 v21, s[0:1], s12, v21
	v_addc_co_u32_e64 v22, s[0:1], v23, v22, s[0:1]
	s_movk_i32 s0, 0x358b
	v_mul_u32_u24_sdwa v23, v25, s0 dst_sel:DWORD dst_unused:UNUSED_PAD src0_sel:WORD_0 src1_sel:DWORD
	v_lshrrev_b32_e32 v23, 21, v23
	v_mul_lo_u16_e32 v23, 0x99, v23
	v_sub_u16_e32 v23, v25, v23
	s_waitcnt lgkmcnt(0)
	s_barrier
	v_lshlrev_b32_e32 v39, 4, v23
	global_load_dwordx4 v[31:34], v[21:22], off offset:2176
	global_load_dwordx4 v[35:38], v39, s[12:13] offset:2176
	v_mul_u32_u24_sdwa v21, v0, s0 dst_sel:DWORD dst_unused:UNUSED_PAD src0_sel:WORD_0 src1_sel:DWORD
	v_lshrrev_b32_e32 v21, 21, v21
	v_mul_lo_u16_e32 v21, 0x99, v21
	v_sub_u16_e32 v55, v0, v21
	v_lshlrev_b32_e32 v0, 4, v55
	global_load_dwordx4 v[39:42], v0, s[12:13] offset:2176
	v_mul_u32_u24_sdwa v0, v26, s0 dst_sel:DWORD dst_unused:UNUSED_PAD src0_sel:WORD_0 src1_sel:DWORD
	v_lshrrev_b32_e32 v0, 21, v0
	v_mul_lo_u16_e32 v0, 0x99, v0
	v_sub_u16_e32 v86, v26, v0
	v_add_u32_e32 v48, 0x2fd, v94
	v_lshlrev_b32_e32 v0, 4, v86
	global_load_dwordx4 v[43:46], v0, s[12:13] offset:2176
	v_mul_u32_u24_sdwa v0, v48, s0 dst_sel:DWORD dst_unused:UNUSED_PAD src0_sel:WORD_0 src1_sel:DWORD
	v_lshrrev_b32_e32 v0, 21, v0
	v_mul_lo_u16_e32 v0, 0x99, v0
	v_sub_u16_e32 v87, v48, v0
	v_lshlrev_b32_e32 v0, 4, v87
	global_load_dwordx4 v[47:50], v0, s[12:13] offset:2176
	ds_read2_b64 v[51:54], v56 offset1:153
	ds_read2_b64 v[58:61], v100 offset0:22 offset1:175
	ds_read2_b64 v[62:65], v57 offset0:50 offset1:203
	;; [unrolled: 1-line block ×5, first 2 shown]
	s_waitcnt vmcnt(0) lgkmcnt(0)
	s_barrier
	v_mul_f64 v[21:22], v[58:59], v[33:34]
	v_mul_f64 v[78:79], v[5:6], v[33:34]
	v_mul_f64 v[80:81], v[60:61], v[33:34]
	v_mul_f64 v[33:34], v[7:8], v[33:34]
	v_mul_f64 v[82:83], v[66:67], v[37:38]
	v_mul_f64 v[37:38], v[13:14], v[37:38]
	v_mul_f64 v[84:85], v[68:69], v[41:42]
	v_mul_f64 v[41:42], v[15:16], v[41:42]
	v_fma_f64 v[5:6], v[5:6], v[31:32], v[21:22]
	v_fma_f64 v[21:22], v[58:59], v[31:32], -v[78:79]
	v_fma_f64 v[7:8], v[7:8], v[31:32], v[80:81]
	v_fma_f64 v[31:32], v[60:61], v[31:32], -v[33:34]
	;; [unrolled: 2-line block ×3, first 2 shown]
	v_mul_f64 v[37:38], v[74:75], v[45:46]
	v_fma_f64 v[35:36], v[68:69], v[39:40], -v[41:42]
	v_fma_f64 v[15:16], v[15:16], v[39:40], v[84:85]
	v_mul_f64 v[39:40], v[27:28], v[45:46]
	v_add_f64 v[5:6], v[1:2], -v[5:6]
	v_mul_f64 v[41:42], v[76:77], v[49:50]
	v_mul_f64 v[45:46], v[29:30], v[49:50]
	v_add_f64 v[49:50], v[51:52], -v[21:22]
	v_fma_f64 v[21:22], v[27:28], v[43:44], v[37:38]
	v_add_f64 v[7:8], v[3:4], -v[7:8]
	v_add_f64 v[13:14], v[9:10], -v[13:14]
	;; [unrolled: 1-line block ×3, first 2 shown]
	v_fma_f64 v[0:1], v[1:2], 2.0, -v[5:6]
	v_fma_f64 v[29:30], v[29:30], v[47:48], v[41:42]
	v_add_f64 v[31:32], v[53:54], -v[31:32]
	v_fma_f64 v[27:28], v[74:75], v[43:44], -v[39:40]
	v_add_f64 v[21:22], v[17:18], -v[21:22]
	v_fma_f64 v[2:3], v[3:4], 2.0, -v[7:8]
	v_fma_f64 v[37:38], v[76:77], v[47:48], -v[45:46]
	v_fma_f64 v[9:10], v[9:10], 2.0, -v[13:14]
	v_fma_f64 v[11:12], v[11:12], 2.0, -v[15:16]
	v_add_f64 v[29:30], v[19:20], -v[29:30]
	v_add_f64 v[33:34], v[62:63], -v[33:34]
	ds_write2_b64 v56, v[0:1], v[5:6] offset1:153
	ds_write2_b64 v57, v[2:3], v[7:8] offset0:50 offset1:203
	v_fma_f64 v[17:18], v[17:18], 2.0, -v[21:22]
	v_lshl_add_u32 v0, v23, 3, 0
	v_fma_f64 v[41:42], v[53:54], 2.0, -v[31:32]
	v_add_f64 v[35:36], v[64:65], -v[35:36]
	v_fma_f64 v[19:20], v[19:20], 2.0, -v[29:30]
	v_add_u32_e32 v53, 0x1000, v0
	v_lshl_add_u32 v0, v55, 3, 0
	v_add_f64 v[27:28], v[70:71], -v[27:28]
	v_add_u32_e32 v54, 0x1c00, v0
	v_lshl_add_u32 v0, v86, 3, 0
	v_add_f64 v[37:38], v[72:73], -v[37:38]
	v_add_u32_e32 v55, 0x2400, v0
	v_lshl_add_u32 v0, v87, 3, 0
	v_add_u32_e32 v58, 0x2e00, v0
	ds_write2_b64 v53, v[9:10], v[13:14] offset0:100 offset1:253
	ds_write2_b64 v54, v[11:12], v[15:16] offset0:22 offset1:175
	ds_write2_b64 v55, v[17:18], v[21:22] offset0:72 offset1:225
	ds_write2_b64 v58, v[19:20], v[29:30] offset0:58 offset1:211
	s_waitcnt lgkmcnt(0)
	s_barrier
	ds_read2_b64 v[0:3], v56 offset1:153
	ds_read2_b64 v[20:23], v57 offset0:50 offset1:203
	ds_read2_b64 v[8:11], v98 offset0:100 offset1:253
	;; [unrolled: 1-line block ×5, first 2 shown]
	v_fma_f64 v[39:40], v[51:52], 2.0, -v[49:50]
	v_fma_f64 v[43:44], v[62:63], 2.0, -v[33:34]
	;; [unrolled: 1-line block ×5, first 2 shown]
	s_waitcnt lgkmcnt(0)
	s_barrier
	ds_write2_b64 v56, v[39:40], v[49:50] offset1:153
	ds_write2_b64 v57, v[41:42], v[31:32] offset0:50 offset1:203
	ds_write2_b64 v53, v[43:44], v[33:34] offset0:100 offset1:253
	;; [unrolled: 1-line block ×5, first 2 shown]
	s_waitcnt lgkmcnt(0)
	s_barrier
	s_and_saveexec_b64 s[0:1], vcc
	s_cbranch_execz .LBB0_17
; %bb.16:
	v_mul_u32_u24_e32 v27, 5, v24
	v_lshlrev_b32_e32 v27, 4, v27
	v_mov_b32_e32 v37, s13
	v_add_co_u32_e32 v55, vcc, s12, v27
	s_movk_i32 s1, 0x1000
	v_addc_co_u32_e32 v61, vcc, 0, v37, vcc
	v_add_co_u32_e32 v35, vcc, s1, v55
	v_addc_co_u32_e32 v36, vcc, 0, v61, vcc
	global_load_dwordx4 v[27:30], v[35:36], off offset:528
	global_load_dwordx4 v[31:34], v[35:36], off offset:592
	v_mul_u32_u24_e32 v35, 5, v94
	v_lshlrev_b32_e32 v35, 4, v35
	v_add_co_u32_e32 v35, vcc, s12, v35
	s_movk_i32 s0, 0x1210
	v_addc_co_u32_e32 v36, vcc, 0, v37, vcc
	v_add_co_u32_e32 v57, vcc, s0, v35
	v_addc_co_u32_e32 v58, vcc, 0, v36, vcc
	v_add_co_u32_e32 v59, vcc, s1, v35
	;; [unrolled: 2-line block ×3, first 2 shown]
	v_addc_co_u32_e32 v70, vcc, 0, v61, vcc
	global_load_dwordx4 v[35:38], v[57:58], off offset:16
	global_load_dwordx4 v[39:42], v[57:58], off offset:48
	;; [unrolled: 1-line block ×5, first 2 shown]
	s_nop 0
	global_load_dwordx4 v[57:60], v[69:70], off offset:16
	global_load_dwordx4 v[61:64], v[69:70], off offset:48
	;; [unrolled: 1-line block ×3, first 2 shown]
	v_add_u32_e32 v73, 0x1000, v56
	v_add_u32_e32 v77, 0x2400, v56
	;; [unrolled: 1-line block ×4, first 2 shown]
	v_mul_lo_u32 v55, s7, v96
	v_mul_lo_u32 v91, s6, v97
	v_mad_u64_u32 v[89:90], s[0:1], s6, v96, 0
	ds_read2_b64 v[69:72], v56 offset1:153
	v_add_u32_e32 v56, 0x800, v56
	ds_read2_b64 v[73:76], v73 offset0:100 offset1:253
	ds_read2_b64 v[77:80], v77 offset0:72 offset1:225
	;; [unrolled: 1-line block ×5, first 2 shown]
	v_add3_u32 v90, v90, v91, v55
	s_waitcnt vmcnt(9)
	v_mul_f64 v[99:100], v[22:23], v[27:28]
	s_waitcnt vmcnt(8)
	v_mul_f64 v[55:56], v[18:19], v[33:34]
	s_waitcnt lgkmcnt(1)
	v_mul_f64 v[33:34], v[87:88], v[33:34]
	v_mul_f64 v[22:23], v[22:23], v[29:30]
	s_waitcnt lgkmcnt(0)
	v_fma_f64 v[29:30], v[97:98], v[29:30], v[99:100]
	v_fma_f64 v[55:56], v[87:88], v[31:32], -v[55:56]
	v_fma_f64 v[18:19], v[18:19], v[31:32], v[33:34]
	v_fma_f64 v[22:23], v[97:98], v[27:28], -v[22:23]
	s_waitcnt vmcnt(7)
	v_mul_f64 v[101:102], v[8:9], v[37:38]
	v_mul_f64 v[37:38], v[73:74], v[37:38]
	s_waitcnt vmcnt(5)
	v_mul_f64 v[105:106], v[4:5], v[45:46]
	v_mul_f64 v[45:46], v[81:82], v[45:46]
	;; [unrolled: 1-line block ×3, first 2 shown]
	s_waitcnt vmcnt(0)
	v_mul_f64 v[115:116], v[6:7], v[67:68]
	v_mul_f64 v[41:42], v[77:78], v[41:42]
	;; [unrolled: 1-line block ×4, first 2 shown]
	v_fma_f64 v[33:34], v[8:9], v[35:36], v[37:38]
	v_fma_f64 v[37:38], v[81:82], v[43:44], -v[105:106]
	v_fma_f64 v[43:44], v[4:5], v[43:44], v[45:46]
	v_mul_f64 v[20:21], v[20:21], v[49:50]
	v_fma_f64 v[4:5], v[83:84], v[65:66], -v[115:116]
	v_mul_f64 v[111:112], v[10:11], v[59:60]
	v_mul_f64 v[113:114], v[14:15], v[63:64]
	;; [unrolled: 1-line block ×4, first 2 shown]
	v_fma_f64 v[27:28], v[73:74], v[35:36], -v[101:102]
	v_fma_f64 v[35:36], v[12:13], v[39:40], v[41:42]
	v_fma_f64 v[41:42], v[95:96], v[49:50], v[109:110]
	;; [unrolled: 1-line block ×3, first 2 shown]
	v_add_f64 v[49:50], v[4:5], v[55:56]
	v_mul_f64 v[107:108], v[16:17], v[53:54]
	v_fma_f64 v[8:9], v[75:76], v[57:58], -v[111:112]
	v_fma_f64 v[12:13], v[79:80], v[61:62], -v[113:114]
	v_fma_f64 v[10:11], v[10:11], v[57:58], v[59:60]
	v_fma_f64 v[14:15], v[14:15], v[61:62], v[63:64]
	v_mul_f64 v[53:54], v[85:86], v[53:54]
	v_add_f64 v[63:64], v[6:7], v[18:19]
	v_add_f64 v[65:66], v[6:7], -v[18:19]
	v_fma_f64 v[49:50], v[49:50], -0.5, v[22:23]
	v_fma_f64 v[31:32], v[77:78], v[39:40], -v[103:104]
	v_fma_f64 v[39:40], v[85:86], v[51:52], -v[107:108]
	v_add_f64 v[57:58], v[8:9], v[12:13]
	v_add_f64 v[59:60], v[10:11], -v[14:15]
	v_add_f64 v[61:62], v[4:5], -v[55:56]
	v_add_f64 v[67:68], v[71:72], v[8:9]
	v_add_f64 v[4:5], v[4:5], v[22:23]
	;; [unrolled: 1-line block ×4, first 2 shown]
	v_fma_f64 v[63:64], v[63:64], -0.5, v[29:30]
	v_add_f64 v[6:7], v[6:7], v[29:30]
	v_fma_f64 v[29:30], v[65:66], s[2:3], v[49:50]
	v_fma_f64 v[49:50], v[65:66], s[4:5], v[49:50]
	;; [unrolled: 1-line block ×3, first 2 shown]
	v_fma_f64 v[47:48], v[95:96], v[47:48], -v[20:21]
	v_add_f64 v[51:52], v[37:38], v[39:40]
	v_add_f64 v[8:9], v[8:9], -v[12:13]
	v_fma_f64 v[57:58], v[57:58], -0.5, v[71:72]
	v_add_f64 v[65:66], v[67:68], v[12:13]
	v_add_f64 v[55:56], v[55:56], v[4:5]
	v_fma_f64 v[4:5], v[61:62], s[4:5], v[63:64]
	v_fma_f64 v[12:13], v[61:62], s[2:3], v[63:64]
	v_mul_f64 v[61:62], v[29:30], -0.5
	v_mul_f64 v[63:64], v[49:50], 0.5
	v_fma_f64 v[2:3], v[22:23], -0.5, v[2:3]
	v_add_f64 v[22:23], v[10:11], v[14:15]
	v_mul_f64 v[10:11], v[29:30], s[2:3]
	v_add_f64 v[16:17], v[27:28], v[31:32]
	v_add_f64 v[20:21], v[43:44], v[45:46]
	v_add_f64 v[53:54], v[43:44], -v[45:46]
	v_fma_f64 v[51:52], v[51:52], -0.5, v[47:48]
	v_fma_f64 v[14:15], v[59:60], s[2:3], v[57:58]
	v_mul_f64 v[29:30], v[49:50], s[2:3]
	v_fma_f64 v[49:50], v[59:60], s[4:5], v[57:58]
	v_fma_f64 v[57:58], v[4:5], s[4:5], v[61:62]
	;; [unrolled: 1-line block ×3, first 2 shown]
	v_add_f64 v[61:62], v[18:19], v[6:7]
	v_fma_f64 v[18:19], v[8:9], s[4:5], v[2:3]
	v_fma_f64 v[63:64], v[4:5], -0.5, v[10:11]
	v_fma_f64 v[67:68], v[8:9], s[2:3], v[2:3]
	v_add_f64 v[73:74], v[37:38], -v[39:40]
	v_fma_f64 v[75:76], v[20:21], -0.5, v[41:42]
	v_add_f64 v[8:9], v[14:15], -v[57:58]
	v_fma_f64 v[77:78], v[53:54], s[2:3], v[51:52]
	v_fma_f64 v[79:80], v[16:17], -0.5, v[69:70]
	v_add_f64 v[16:17], v[14:15], v[57:58]
	v_add_f64 v[6:7], v[18:19], -v[63:64]
	v_fma_f64 v[51:52], v[53:54], s[4:5], v[51:52]
	v_add_f64 v[14:15], v[18:19], v[63:64]
	v_add_f64 v[18:19], v[33:34], v[35:36]
	v_fma_f64 v[71:72], v[12:13], 0.5, v[29:30]
	v_add_f64 v[4:5], v[65:66], -v[55:56]
	v_add_f64 v[12:13], v[49:50], -v[59:60]
	;; [unrolled: 1-line block ×3, first 2 shown]
	v_fma_f64 v[57:58], v[73:74], s[4:5], v[75:76]
	v_mul_f64 v[53:54], v[77:78], -0.5
	v_add_f64 v[20:21], v[49:50], v[59:60]
	v_add_f64 v[29:30], v[65:66], v[55:56]
	v_fma_f64 v[55:56], v[73:74], s[2:3], v[75:76]
	v_mul_f64 v[59:60], v[51:52], 0.5
	v_add_f64 v[65:66], v[69:70], v[27:28]
	v_add_f64 v[37:38], v[37:38], v[47:48]
	v_add_f64 v[27:28], v[27:28], -v[31:32]
	v_fma_f64 v[18:19], v[18:19], -0.5, v[0:1]
	v_mul_f64 v[47:48], v[77:78], s[2:3]
	v_mul_f64 v[51:52], v[51:52], s[2:3]
	v_add_f64 v[0:1], v[0:1], v[33:34]
	v_add_f64 v[33:34], v[43:44], v[41:42]
	v_fma_f64 v[49:50], v[81:82], s[2:3], v[79:80]
	v_fma_f64 v[53:54], v[57:58], s[4:5], v[53:54]
	;; [unrolled: 1-line block ×3, first 2 shown]
	v_add_f64 v[43:44], v[65:66], v[31:32]
	v_add_f64 v[65:66], v[39:40], v[37:38]
	v_fma_f64 v[69:70], v[27:28], s[4:5], v[18:19]
	v_fma_f64 v[47:48], v[57:58], -0.5, v[47:48]
	v_fma_f64 v[57:58], v[27:28], s[2:3], v[18:19]
	v_fma_f64 v[51:52], v[55:56], 0.5, v[51:52]
	v_add_f64 v[0:1], v[0:1], v[35:36]
	v_add_f64 v[55:56], v[45:46], v[33:34]
	v_fma_f64 v[63:64], v[81:82], s[4:5], v[79:80]
	v_add_f64 v[2:3], v[22:23], -v[61:62]
	v_add_f64 v[27:28], v[22:23], v[61:62]
	v_mad_u64_u32 v[22:23], s[0:1], s20, v94, 0
	v_add_f64 v[33:34], v[49:50], -v[53:54]
	v_add_f64 v[41:42], v[43:44], -v[65:66]
	;; [unrolled: 1-line block ×5, first 2 shown]
	v_add_f64 v[45:46], v[49:50], v[53:54]
	v_add_f64 v[53:54], v[43:44], v[65:66]
	;; [unrolled: 1-line block ×5, first 2 shown]
	v_lshlrev_b64 v[0:1], 4, v[89:90]
	v_add_f64 v[37:38], v[63:64], -v[59:60]
	v_add_f64 v[49:50], v[63:64], v[59:60]
	v_mad_u64_u32 v[59:60], s[0:1], s21, v94, v[23:24]
	v_mov_b32_e32 v55, s11
	v_add_co_u32_e32 v56, vcc, s10, v0
	v_addc_co_u32_e32 v55, vcc, v55, v1, vcc
	v_lshlrev_b64 v[0:1], 4, v[92:93]
	v_mov_b32_e32 v23, v59
	v_add_co_u32_e32 v58, vcc, v56, v0
	v_addc_co_u32_e32 v59, vcc, v55, v1, vcc
	v_lshlrev_b64 v[0:1], 4, v[22:23]
	v_mad_u64_u32 v[22:23], s[0:1], s20, v25, 0
	v_add_co_u32_e32 v0, vcc, v58, v0
	v_mad_u64_u32 v[55:56], s[0:1], s21, v25, v[23:24]
	v_mad_u64_u32 v[56:57], s[0:1], s20, v26, 0
	v_addc_co_u32_e32 v1, vcc, v59, v1, vcc
	v_mov_b32_e32 v23, v55
	global_store_dwordx4 v[0:1], v[51:54], off
	v_lshlrev_b64 v[0:1], 4, v[22:23]
	v_mov_b32_e32 v22, v57
	v_mad_u64_u32 v[22:23], s[0:1], s21, v26, v[22:23]
	v_add_u32_e32 v25, 0x396, v94
	v_add_co_u32_e32 v0, vcc, v58, v0
	v_mov_b32_e32 v57, v22
	v_mad_u64_u32 v[22:23], s[0:1], s20, v25, 0
	v_addc_co_u32_e32 v1, vcc, v59, v1, vcc
	v_mad_u64_u32 v[25:26], s[0:1], s21, v25, v[23:24]
	v_add_u32_e32 v26, 0x4c8, v94
	global_store_dwordx4 v[0:1], v[47:50], off
	v_lshlrev_b64 v[0:1], 4, v[56:57]
	v_mad_u64_u32 v[47:48], s[0:1], s20, v26, 0
	v_add_co_u32_e32 v0, vcc, v58, v0
	v_addc_co_u32_e32 v1, vcc, v59, v1, vcc
	v_mov_b32_e32 v23, v25
	global_store_dwordx4 v[0:1], v[43:46], off
	v_lshlrev_b64 v[0:1], 4, v[22:23]
	v_mov_b32_e32 v22, v48
	v_mad_u64_u32 v[22:23], s[0:1], s21, v26, v[22:23]
	v_add_co_u32_e32 v0, vcc, v58, v0
	v_addc_co_u32_e32 v1, vcc, v59, v1, vcc
	v_mov_b32_e32 v48, v22
	v_add_u32_e32 v25, 0x5fa, v94
	global_store_dwordx4 v[0:1], v[39:42], off
	v_lshlrev_b64 v[0:1], 4, v[47:48]
	v_mad_u64_u32 v[22:23], s[0:1], s20, v25, 0
	v_add_co_u32_e32 v0, vcc, v58, v0
	v_addc_co_u32_e32 v1, vcc, v59, v1, vcc
	global_store_dwordx4 v[0:1], v[35:38], off
	v_mov_b32_e32 v0, v23
	v_mad_u64_u32 v[0:1], s[0:1], s21, v25, v[0:1]
	s_mov_b32 s0, 0xd62b80d7
	v_mul_hi_u32 v25, v24, s0
	v_mov_b32_e32 v23, v0
	s_movk_i32 s0, 0x5fa
	v_lshlrev_b64 v[0:1], 4, v[22:23]
	v_lshrrev_b32_e32 v22, 8, v25
	v_mad_u32_u24 v26, v22, s0, v24
	v_mad_u64_u32 v[22:23], s[0:1], s20, v26, 0
	v_add_u32_e32 v35, 0x132, v26
	v_add_co_u32_e32 v0, vcc, v58, v0
	v_mad_u64_u32 v[23:24], s[0:1], s21, v26, v[23:24]
	v_mad_u64_u32 v[24:25], s[0:1], s20, v35, 0
	v_addc_co_u32_e32 v1, vcc, v59, v1, vcc
	global_store_dwordx4 v[0:1], v[31:34], off
	v_lshlrev_b64 v[0:1], 4, v[22:23]
	v_mov_b32_e32 v22, v25
	v_mad_u64_u32 v[22:23], s[0:1], s21, v35, v[22:23]
	v_add_co_u32_e32 v0, vcc, v58, v0
	v_addc_co_u32_e32 v1, vcc, v59, v1, vcc
	v_mov_b32_e32 v25, v22
	global_store_dwordx4 v[0:1], v[27:30], off
	v_lshlrev_b64 v[0:1], 4, v[24:25]
	v_add_u32_e32 v24, 0x264, v26
	v_add_f64 v[18:19], v[67:68], v[71:72]
	v_mad_u64_u32 v[22:23], s[0:1], s20, v24, 0
	v_add_co_u32_e32 v0, vcc, v58, v0
	v_mad_u64_u32 v[23:24], s[0:1], s21, v24, v[23:24]
	v_addc_co_u32_e32 v1, vcc, v59, v1, vcc
	v_add_u32_e32 v27, 0x396, v26
	v_mad_u64_u32 v[24:25], s[0:1], s20, v27, 0
	global_store_dwordx4 v[0:1], v[18:21], off
	v_lshlrev_b64 v[0:1], 4, v[22:23]
	v_mov_b32_e32 v18, v25
	v_add_co_u32_e32 v0, vcc, v58, v0
	v_addc_co_u32_e32 v1, vcc, v59, v1, vcc
	global_store_dwordx4 v[0:1], v[14:17], off
	v_mad_u64_u32 v[18:19], s[0:1], s21, v27, v[18:19]
	v_add_u32_e32 v16, 0x4c8, v26
	v_mad_u64_u32 v[14:15], s[0:1], s20, v16, 0
	v_mov_b32_e32 v25, v18
	v_add_u32_e32 v18, 0x5fa, v26
	v_mad_u64_u32 v[15:16], s[0:1], s21, v16, v[15:16]
	v_lshlrev_b64 v[0:1], 4, v[24:25]
	v_mad_u64_u32 v[16:17], s[0:1], s20, v18, 0
	v_add_f64 v[10:11], v[67:68], -v[71:72]
	v_add_co_u32_e32 v0, vcc, v58, v0
	v_addc_co_u32_e32 v1, vcc, v59, v1, vcc
	global_store_dwordx4 v[0:1], v[2:5], off
	v_lshlrev_b64 v[0:1], 4, v[14:15]
	v_mov_b32_e32 v2, v17
	v_mad_u64_u32 v[2:3], s[0:1], s21, v18, v[2:3]
	v_add_co_u32_e32 v0, vcc, v58, v0
	v_addc_co_u32_e32 v1, vcc, v59, v1, vcc
	v_mov_b32_e32 v17, v2
	global_store_dwordx4 v[0:1], v[10:13], off
	v_lshlrev_b64 v[0:1], 4, v[16:17]
	v_add_co_u32_e32 v0, vcc, v58, v0
	v_addc_co_u32_e32 v1, vcc, v59, v1, vcc
	global_store_dwordx4 v[0:1], v[6:9], off
.LBB0_17:
	s_endpgm
	.section	.rodata,"a",@progbits
	.p2align	6, 0x0
	.amdhsa_kernel fft_rtc_back_len1836_factors_17_3_3_2_6_wgs_153_tpt_153_halfLds_dp_op_CI_CI_sbrr_dirReg
		.amdhsa_group_segment_fixed_size 0
		.amdhsa_private_segment_fixed_size 0
		.amdhsa_kernarg_size 104
		.amdhsa_user_sgpr_count 6
		.amdhsa_user_sgpr_private_segment_buffer 1
		.amdhsa_user_sgpr_dispatch_ptr 0
		.amdhsa_user_sgpr_queue_ptr 0
		.amdhsa_user_sgpr_kernarg_segment_ptr 1
		.amdhsa_user_sgpr_dispatch_id 0
		.amdhsa_user_sgpr_flat_scratch_init 0
		.amdhsa_user_sgpr_private_segment_size 0
		.amdhsa_uses_dynamic_stack 0
		.amdhsa_system_sgpr_private_segment_wavefront_offset 0
		.amdhsa_system_sgpr_workgroup_id_x 1
		.amdhsa_system_sgpr_workgroup_id_y 0
		.amdhsa_system_sgpr_workgroup_id_z 0
		.amdhsa_system_sgpr_workgroup_info 0
		.amdhsa_system_vgpr_workitem_id 0
		.amdhsa_next_free_vgpr 236
		.amdhsa_next_free_sgpr 62
		.amdhsa_reserve_vcc 1
		.amdhsa_reserve_flat_scratch 0
		.amdhsa_float_round_mode_32 0
		.amdhsa_float_round_mode_16_64 0
		.amdhsa_float_denorm_mode_32 3
		.amdhsa_float_denorm_mode_16_64 3
		.amdhsa_dx10_clamp 1
		.amdhsa_ieee_mode 1
		.amdhsa_fp16_overflow 0
		.amdhsa_exception_fp_ieee_invalid_op 0
		.amdhsa_exception_fp_denorm_src 0
		.amdhsa_exception_fp_ieee_div_zero 0
		.amdhsa_exception_fp_ieee_overflow 0
		.amdhsa_exception_fp_ieee_underflow 0
		.amdhsa_exception_fp_ieee_inexact 0
		.amdhsa_exception_int_div_zero 0
	.end_amdhsa_kernel
	.text
.Lfunc_end0:
	.size	fft_rtc_back_len1836_factors_17_3_3_2_6_wgs_153_tpt_153_halfLds_dp_op_CI_CI_sbrr_dirReg, .Lfunc_end0-fft_rtc_back_len1836_factors_17_3_3_2_6_wgs_153_tpt_153_halfLds_dp_op_CI_CI_sbrr_dirReg
                                        ; -- End function
	.section	.AMDGPU.csdata,"",@progbits
; Kernel info:
; codeLenInByte = 14456
; NumSgprs: 66
; NumVgprs: 236
; ScratchSize: 0
; MemoryBound: 1
; FloatMode: 240
; IeeeMode: 1
; LDSByteSize: 0 bytes/workgroup (compile time only)
; SGPRBlocks: 8
; VGPRBlocks: 58
; NumSGPRsForWavesPerEU: 66
; NumVGPRsForWavesPerEU: 236
; Occupancy: 1
; WaveLimiterHint : 1
; COMPUTE_PGM_RSRC2:SCRATCH_EN: 0
; COMPUTE_PGM_RSRC2:USER_SGPR: 6
; COMPUTE_PGM_RSRC2:TRAP_HANDLER: 0
; COMPUTE_PGM_RSRC2:TGID_X_EN: 1
; COMPUTE_PGM_RSRC2:TGID_Y_EN: 0
; COMPUTE_PGM_RSRC2:TGID_Z_EN: 0
; COMPUTE_PGM_RSRC2:TIDIG_COMP_CNT: 0
	.type	__hip_cuid_b105706a55cdf016,@object ; @__hip_cuid_b105706a55cdf016
	.section	.bss,"aw",@nobits
	.globl	__hip_cuid_b105706a55cdf016
__hip_cuid_b105706a55cdf016:
	.byte	0                               ; 0x0
	.size	__hip_cuid_b105706a55cdf016, 1

	.ident	"AMD clang version 19.0.0git (https://github.com/RadeonOpenCompute/llvm-project roc-6.4.0 25133 c7fe45cf4b819c5991fe208aaa96edf142730f1d)"
	.section	".note.GNU-stack","",@progbits
	.addrsig
	.addrsig_sym __hip_cuid_b105706a55cdf016
	.amdgpu_metadata
---
amdhsa.kernels:
  - .args:
      - .actual_access:  read_only
        .address_space:  global
        .offset:         0
        .size:           8
        .value_kind:     global_buffer
      - .offset:         8
        .size:           8
        .value_kind:     by_value
      - .actual_access:  read_only
        .address_space:  global
        .offset:         16
        .size:           8
        .value_kind:     global_buffer
      - .actual_access:  read_only
        .address_space:  global
        .offset:         24
        .size:           8
        .value_kind:     global_buffer
      - .actual_access:  read_only
        .address_space:  global
        .offset:         32
        .size:           8
        .value_kind:     global_buffer
      - .offset:         40
        .size:           8
        .value_kind:     by_value
      - .actual_access:  read_only
        .address_space:  global
        .offset:         48
        .size:           8
        .value_kind:     global_buffer
      - .actual_access:  read_only
        .address_space:  global
        .offset:         56
        .size:           8
        .value_kind:     global_buffer
      - .offset:         64
        .size:           4
        .value_kind:     by_value
      - .actual_access:  read_only
        .address_space:  global
        .offset:         72
        .size:           8
        .value_kind:     global_buffer
      - .actual_access:  read_only
        .address_space:  global
        .offset:         80
        .size:           8
        .value_kind:     global_buffer
      - .actual_access:  read_only
        .address_space:  global
        .offset:         88
        .size:           8
        .value_kind:     global_buffer
      - .actual_access:  write_only
        .address_space:  global
        .offset:         96
        .size:           8
        .value_kind:     global_buffer
    .group_segment_fixed_size: 0
    .kernarg_segment_align: 8
    .kernarg_segment_size: 104
    .language:       OpenCL C
    .language_version:
      - 2
      - 0
    .max_flat_workgroup_size: 153
    .name:           fft_rtc_back_len1836_factors_17_3_3_2_6_wgs_153_tpt_153_halfLds_dp_op_CI_CI_sbrr_dirReg
    .private_segment_fixed_size: 0
    .sgpr_count:     66
    .sgpr_spill_count: 0
    .symbol:         fft_rtc_back_len1836_factors_17_3_3_2_6_wgs_153_tpt_153_halfLds_dp_op_CI_CI_sbrr_dirReg.kd
    .uniform_work_group_size: 1
    .uses_dynamic_stack: false
    .vgpr_count:     236
    .vgpr_spill_count: 0
    .wavefront_size: 64
amdhsa.target:   amdgcn-amd-amdhsa--gfx906
amdhsa.version:
  - 1
  - 2
...

	.end_amdgpu_metadata
